;; amdgpu-corpus repo=ggml-org/llama.cpp kind=compiled arch=gfx1030 opt=O3
	.amdgcn_target "amdgcn-amd-amdhsa--gfx1030"
	.amdhsa_code_object_version 6
	.text
	.p2align	2                               ; -- Begin function __ockl_printf_append_string_n
	.type	__ockl_printf_append_string_n,@function
__ockl_printf_append_string_n:          ; @__ockl_printf_append_string_n
; %bb.0:
	s_waitcnt vmcnt(0) expcnt(0) lgkmcnt(0)
	v_mov_b32_e32 v3, v0
	v_mbcnt_lo_u32_b32 v36, -1, 0
	s_getpc_b64 s[4:5]
	s_add_u32 s4, s4, __FUNCTION__._ZL18flash_attn_ext_f16ILi64ELi64ELi8ELi1ELb0ELb0EEvPKcS1_S1_S1_S1_PKiPfP15HIP_vector_typeIfLj2EEffffjfiS5_IjLj3EEiiiiiiiiiiiliiliiiiil@rel32@lo+4
	s_addc_u32 s5, s5, __FUNCTION__._ZL18flash_attn_ext_f16ILi64ELi64ELi8ELi1ELb0ELb0EEvPKcS1_S1_S1_S1_PKiPfP15HIP_vector_typeIfLj2EEffffjfiS5_IjLj3EEiiiiiiiiiiiliiliiiiil@rel32@hi+12
	s_cmp_lg_u64 s[4:5], 0
	s_cbranch_scc0 .LBB0_87
; %bb.1:
	s_load_dwordx2 s[6:7], s[8:9], 0x50
	v_and_b32_e32 v0, -3, v3
	s_getpc_b64 s[4:5]
	s_add_u32 s4, s4, __FUNCTION__._ZL18flash_attn_ext_f16ILi64ELi64ELi8ELi1ELb0ELb0EEvPKcS1_S1_S1_S1_PKiPfP15HIP_vector_typeIfLj2EEffffjfiS5_IjLj3EEiiiiiiiiiiiliiliiiiil@rel32@lo+4
	s_addc_u32 s5, s5, __FUNCTION__._ZL18flash_attn_ext_f16ILi64ELi64ELi8ELi1ELb0ELb0EEvPKcS1_S1_S1_S1_PKiPfP15HIP_vector_typeIfLj2EEffffjfiS5_IjLj3EEiiiiiiiiiiiliiliiiiil@rel32@hi+12
	v_mov_b32_e32 v7, v1
	v_mov_b32_e32 v31, s5
	v_and_b32_e32 v2, 2, v3
	v_mov_b32_e32 v11, 0
	v_mov_b32_e32 v30, s4
	;; [unrolled: 1-line block ×5, first 2 shown]
	s_mov_b32 s15, 0
	s_mov_b32 s14, 0
	s_branch .LBB0_3
.LBB0_2:                                ;   in Loop: Header=BB0_3 Depth=1
	s_or_b32 exec_lo, exec_lo, s12
	v_sub_co_u32 v4, vcc_lo, v4, v32
	v_sub_co_ci_u32_e64 v5, null, v5, v33, vcc_lo
	v_add_co_u32 v30, s4, v30, v32
	v_add_co_ci_u32_e64 v31, null, v31, v33, s4
	v_cmp_eq_u64_e32 vcc_lo, 0, v[4:5]
	s_or_b32 s14, vcc_lo, s14
	s_andn2_b32 exec_lo, exec_lo, s14
	s_cbranch_execz .LBB0_85
.LBB0_3:                                ; =>This Loop Header: Depth=1
                                        ;     Child Loop BB0_6 Depth 2
                                        ;     Child Loop BB0_14 Depth 2
                                        ;     Child Loop BB0_22 Depth 2
                                        ;     Child Loop BB0_30 Depth 2
                                        ;     Child Loop BB0_38 Depth 2
                                        ;     Child Loop BB0_46 Depth 2
                                        ;     Child Loop BB0_54 Depth 2
                                        ;     Child Loop BB0_62 Depth 2
                                        ;     Child Loop BB0_70 Depth 2
                                        ;     Child Loop BB0_79 Depth 2
                                        ;     Child Loop BB0_84 Depth 2
	v_cmp_gt_u64_e32 vcc_lo, 56, v[4:5]
	s_mov_b32 s5, exec_lo
	v_cndmask_b32_e32 v33, 0, v5, vcc_lo
	v_cndmask_b32_e32 v32, 56, v4, vcc_lo
	v_add_co_u32 v16, vcc_lo, v30, 8
	v_add_co_ci_u32_e64 v17, null, 0, v31, vcc_lo
	v_cmpx_gt_u64_e32 8, v[4:5]
	s_xor_b32 s5, exec_lo, s5
	s_cbranch_execz .LBB0_9
; %bb.4:                                ;   in Loop: Header=BB0_3 Depth=1
	v_mov_b32_e32 v8, 0
	v_mov_b32_e32 v9, 0
	s_mov_b32 s12, exec_lo
	v_cmpx_ne_u64_e32 0, v[4:5]
	s_cbranch_execz .LBB0_8
; %bb.5:                                ;   in Loop: Header=BB0_3 Depth=1
	v_lshlrev_b64 v[14:15], 3, v[32:33]
	v_mov_b32_e32 v8, 0
	v_mov_b32_e32 v15, v30
	;; [unrolled: 1-line block ×4, first 2 shown]
	s_mov_b64 s[10:11], 0
	s_mov_b32 s13, 0
	.p2align	6
.LBB0_6:                                ;   Parent Loop BB0_3 Depth=1
                                        ; =>  This Inner Loop Header: Depth=2
	global_load_ubyte v0, v[15:16], off
	v_mov_b32_e32 v18, s15
	v_add_co_u32 v15, vcc_lo, v15, 1
	v_add_co_ci_u32_e64 v16, null, 0, v16, vcc_lo
	s_waitcnt vmcnt(0)
	v_and_b32_e32 v17, 0xffff, v0
	v_lshlrev_b64 v[17:18], s10, v[17:18]
	s_add_u32 s10, s10, 8
	s_addc_u32 s11, s11, 0
	v_cmp_eq_u32_e64 s4, s10, v14
	v_or_b32_e32 v9, v18, v9
	v_or_b32_e32 v8, v17, v8
	s_or_b32 s13, s4, s13
	s_andn2_b32 exec_lo, exec_lo, s13
	s_cbranch_execnz .LBB0_6
; %bb.7:                                ;   in Loop: Header=BB0_3 Depth=1
	s_or_b32 exec_lo, exec_lo, s13
.LBB0_8:                                ;   in Loop: Header=BB0_3 Depth=1
	s_or_b32 exec_lo, exec_lo, s12
	v_mov_b32_e32 v16, v30
	v_mov_b32_e32 v17, v31
.LBB0_9:                                ;   in Loop: Header=BB0_3 Depth=1
	s_or_saveexec_b32 s4, s5
	v_mov_b32_e32 v0, 0
	s_xor_b32 exec_lo, exec_lo, s4
	s_cbranch_execz .LBB0_11
; %bb.10:                               ;   in Loop: Header=BB0_3 Depth=1
	global_load_dwordx2 v[8:9], v[30:31], off
	v_add_nc_u32_e32 v0, -8, v32
.LBB0_11:                               ;   in Loop: Header=BB0_3 Depth=1
	s_or_b32 exec_lo, exec_lo, s4
	v_add_co_u32 v18, s4, v16, 8
	v_add_co_ci_u32_e64 v19, null, 0, v17, s4
                                        ; implicit-def: $vgpr14_vgpr15
	s_mov_b32 s4, exec_lo
	v_cmpx_gt_u32_e32 8, v0
	s_xor_b32 s12, exec_lo, s4
	s_cbranch_execz .LBB0_17
; %bb.12:                               ;   in Loop: Header=BB0_3 Depth=1
	v_mov_b32_e32 v14, 0
	v_mov_b32_e32 v15, 0
	s_mov_b32 s13, exec_lo
	v_cmpx_ne_u32_e32 0, v0
	s_cbranch_execz .LBB0_16
; %bb.13:                               ;   in Loop: Header=BB0_3 Depth=1
	v_mov_b32_e32 v14, 0
	v_mov_b32_e32 v15, 0
	s_mov_b64 s[4:5], 0
	s_mov_b32 s16, 0
	s_mov_b64 s[10:11], 0
	.p2align	6
.LBB0_14:                               ;   Parent Loop BB0_3 Depth=1
                                        ; =>  This Inner Loop Header: Depth=2
	v_add_co_u32 v18, vcc_lo, v16, s10
	v_add_co_ci_u32_e64 v19, null, s11, v17, vcc_lo
	s_add_u32 s10, s10, 1
	s_addc_u32 s11, s11, 0
	v_cmp_eq_u32_e32 vcc_lo, s10, v0
	global_load_ubyte v10, v[18:19], off
	v_mov_b32_e32 v19, s15
	s_waitcnt vmcnt(0)
	v_and_b32_e32 v18, 0xffff, v10
	v_lshlrev_b64 v[18:19], s4, v[18:19]
	s_add_u32 s4, s4, 8
	s_addc_u32 s5, s5, 0
	s_or_b32 s16, vcc_lo, s16
	v_or_b32_e32 v15, v19, v15
	v_or_b32_e32 v14, v18, v14
	s_andn2_b32 exec_lo, exec_lo, s16
	s_cbranch_execnz .LBB0_14
; %bb.15:                               ;   in Loop: Header=BB0_3 Depth=1
	s_or_b32 exec_lo, exec_lo, s16
.LBB0_16:                               ;   in Loop: Header=BB0_3 Depth=1
	s_or_b32 exec_lo, exec_lo, s13
	v_mov_b32_e32 v19, v17
	v_mov_b32_e32 v18, v16
                                        ; implicit-def: $vgpr0
.LBB0_17:                               ;   in Loop: Header=BB0_3 Depth=1
	s_or_saveexec_b32 s4, s12
	v_mov_b32_e32 v10, 0
	s_xor_b32 exec_lo, exec_lo, s4
	s_cbranch_execz .LBB0_19
; %bb.18:                               ;   in Loop: Header=BB0_3 Depth=1
	global_load_dwordx2 v[14:15], v[16:17], off
	v_add_nc_u32_e32 v10, -8, v0
.LBB0_19:                               ;   in Loop: Header=BB0_3 Depth=1
	s_or_b32 exec_lo, exec_lo, s4
	v_add_co_u32 v20, s4, v18, 8
	v_add_co_ci_u32_e64 v21, null, 0, v19, s4
	s_mov_b32 s4, exec_lo
	v_cmpx_gt_u32_e32 8, v10
	s_xor_b32 s12, exec_lo, s4
	s_cbranch_execz .LBB0_25
; %bb.20:                               ;   in Loop: Header=BB0_3 Depth=1
	v_mov_b32_e32 v16, 0
	v_mov_b32_e32 v17, 0
	s_mov_b32 s13, exec_lo
	v_cmpx_ne_u32_e32 0, v10
	s_cbranch_execz .LBB0_24
; %bb.21:                               ;   in Loop: Header=BB0_3 Depth=1
	v_mov_b32_e32 v16, 0
	v_mov_b32_e32 v17, 0
	s_mov_b64 s[4:5], 0
	s_mov_b32 s16, 0
	s_mov_b64 s[10:11], 0
	.p2align	6
.LBB0_22:                               ;   Parent Loop BB0_3 Depth=1
                                        ; =>  This Inner Loop Header: Depth=2
	v_add_co_u32 v20, vcc_lo, v18, s10
	v_add_co_ci_u32_e64 v21, null, s11, v19, vcc_lo
	s_add_u32 s10, s10, 1
	s_addc_u32 s11, s11, 0
	v_cmp_eq_u32_e32 vcc_lo, s10, v10
	global_load_ubyte v0, v[20:21], off
	v_mov_b32_e32 v21, s15
	s_waitcnt vmcnt(0)
	v_and_b32_e32 v20, 0xffff, v0
	v_lshlrev_b64 v[20:21], s4, v[20:21]
	s_add_u32 s4, s4, 8
	s_addc_u32 s5, s5, 0
	s_or_b32 s16, vcc_lo, s16
	v_or_b32_e32 v17, v21, v17
	v_or_b32_e32 v16, v20, v16
	s_andn2_b32 exec_lo, exec_lo, s16
	s_cbranch_execnz .LBB0_22
; %bb.23:                               ;   in Loop: Header=BB0_3 Depth=1
	s_or_b32 exec_lo, exec_lo, s16
.LBB0_24:                               ;   in Loop: Header=BB0_3 Depth=1
	s_or_b32 exec_lo, exec_lo, s13
	v_mov_b32_e32 v21, v19
	v_mov_b32_e32 v20, v18
                                        ; implicit-def: $vgpr10
.LBB0_25:                               ;   in Loop: Header=BB0_3 Depth=1
	s_or_saveexec_b32 s4, s12
	v_mov_b32_e32 v0, 0
	s_xor_b32 exec_lo, exec_lo, s4
	s_cbranch_execz .LBB0_27
; %bb.26:                               ;   in Loop: Header=BB0_3 Depth=1
	global_load_dwordx2 v[16:17], v[18:19], off
	v_add_nc_u32_e32 v0, -8, v10
.LBB0_27:                               ;   in Loop: Header=BB0_3 Depth=1
	s_or_b32 exec_lo, exec_lo, s4
	v_add_co_u32 v22, s4, v20, 8
	v_add_co_ci_u32_e64 v23, null, 0, v21, s4
                                        ; implicit-def: $vgpr18_vgpr19
	s_mov_b32 s4, exec_lo
	v_cmpx_gt_u32_e32 8, v0
	s_xor_b32 s12, exec_lo, s4
	s_cbranch_execz .LBB0_33
; %bb.28:                               ;   in Loop: Header=BB0_3 Depth=1
	v_mov_b32_e32 v18, 0
	v_mov_b32_e32 v19, 0
	s_mov_b32 s13, exec_lo
	v_cmpx_ne_u32_e32 0, v0
	s_cbranch_execz .LBB0_32
; %bb.29:                               ;   in Loop: Header=BB0_3 Depth=1
	v_mov_b32_e32 v18, 0
	v_mov_b32_e32 v19, 0
	s_mov_b64 s[4:5], 0
	s_mov_b32 s16, 0
	s_mov_b64 s[10:11], 0
	.p2align	6
.LBB0_30:                               ;   Parent Loop BB0_3 Depth=1
                                        ; =>  This Inner Loop Header: Depth=2
	v_add_co_u32 v22, vcc_lo, v20, s10
	v_add_co_ci_u32_e64 v23, null, s11, v21, vcc_lo
	s_add_u32 s10, s10, 1
	s_addc_u32 s11, s11, 0
	v_cmp_eq_u32_e32 vcc_lo, s10, v0
	global_load_ubyte v10, v[22:23], off
	v_mov_b32_e32 v23, s15
	s_waitcnt vmcnt(0)
	v_and_b32_e32 v22, 0xffff, v10
	v_lshlrev_b64 v[22:23], s4, v[22:23]
	s_add_u32 s4, s4, 8
	s_addc_u32 s5, s5, 0
	s_or_b32 s16, vcc_lo, s16
	v_or_b32_e32 v19, v23, v19
	v_or_b32_e32 v18, v22, v18
	s_andn2_b32 exec_lo, exec_lo, s16
	s_cbranch_execnz .LBB0_30
; %bb.31:                               ;   in Loop: Header=BB0_3 Depth=1
	s_or_b32 exec_lo, exec_lo, s16
.LBB0_32:                               ;   in Loop: Header=BB0_3 Depth=1
	s_or_b32 exec_lo, exec_lo, s13
	v_mov_b32_e32 v23, v21
	v_mov_b32_e32 v22, v20
                                        ; implicit-def: $vgpr0
.LBB0_33:                               ;   in Loop: Header=BB0_3 Depth=1
	s_or_saveexec_b32 s4, s12
	v_mov_b32_e32 v10, 0
	s_xor_b32 exec_lo, exec_lo, s4
	s_cbranch_execz .LBB0_35
; %bb.34:                               ;   in Loop: Header=BB0_3 Depth=1
	global_load_dwordx2 v[18:19], v[20:21], off
	v_add_nc_u32_e32 v10, -8, v0
.LBB0_35:                               ;   in Loop: Header=BB0_3 Depth=1
	s_or_b32 exec_lo, exec_lo, s4
	v_add_co_u32 v24, s4, v22, 8
	v_add_co_ci_u32_e64 v25, null, 0, v23, s4
	s_mov_b32 s4, exec_lo
	v_cmpx_gt_u32_e32 8, v10
	s_xor_b32 s12, exec_lo, s4
	s_cbranch_execz .LBB0_41
; %bb.36:                               ;   in Loop: Header=BB0_3 Depth=1
	v_mov_b32_e32 v20, 0
	v_mov_b32_e32 v21, 0
	s_mov_b32 s13, exec_lo
	v_cmpx_ne_u32_e32 0, v10
	s_cbranch_execz .LBB0_40
; %bb.37:                               ;   in Loop: Header=BB0_3 Depth=1
	v_mov_b32_e32 v20, 0
	v_mov_b32_e32 v21, 0
	s_mov_b64 s[4:5], 0
	s_mov_b32 s16, 0
	s_mov_b64 s[10:11], 0
	.p2align	6
.LBB0_38:                               ;   Parent Loop BB0_3 Depth=1
                                        ; =>  This Inner Loop Header: Depth=2
	v_add_co_u32 v24, vcc_lo, v22, s10
	v_add_co_ci_u32_e64 v25, null, s11, v23, vcc_lo
	s_add_u32 s10, s10, 1
	s_addc_u32 s11, s11, 0
	v_cmp_eq_u32_e32 vcc_lo, s10, v10
	global_load_ubyte v0, v[24:25], off
	v_mov_b32_e32 v25, s15
	s_waitcnt vmcnt(0)
	v_and_b32_e32 v24, 0xffff, v0
	v_lshlrev_b64 v[24:25], s4, v[24:25]
	s_add_u32 s4, s4, 8
	s_addc_u32 s5, s5, 0
	s_or_b32 s16, vcc_lo, s16
	v_or_b32_e32 v21, v25, v21
	v_or_b32_e32 v20, v24, v20
	s_andn2_b32 exec_lo, exec_lo, s16
	s_cbranch_execnz .LBB0_38
; %bb.39:                               ;   in Loop: Header=BB0_3 Depth=1
	s_or_b32 exec_lo, exec_lo, s16
.LBB0_40:                               ;   in Loop: Header=BB0_3 Depth=1
	s_or_b32 exec_lo, exec_lo, s13
	v_mov_b32_e32 v25, v23
	v_mov_b32_e32 v24, v22
                                        ; implicit-def: $vgpr10
.LBB0_41:                               ;   in Loop: Header=BB0_3 Depth=1
	s_or_saveexec_b32 s4, s12
	v_mov_b32_e32 v0, 0
	s_xor_b32 exec_lo, exec_lo, s4
	s_cbranch_execz .LBB0_43
; %bb.42:                               ;   in Loop: Header=BB0_3 Depth=1
	global_load_dwordx2 v[20:21], v[22:23], off
	v_add_nc_u32_e32 v0, -8, v10
.LBB0_43:                               ;   in Loop: Header=BB0_3 Depth=1
	s_or_b32 exec_lo, exec_lo, s4
	v_add_co_u32 v26, s4, v24, 8
	v_add_co_ci_u32_e64 v27, null, 0, v25, s4
                                        ; implicit-def: $vgpr22_vgpr23
	s_mov_b32 s4, exec_lo
	v_cmpx_gt_u32_e32 8, v0
	s_xor_b32 s12, exec_lo, s4
	s_cbranch_execz .LBB0_49
; %bb.44:                               ;   in Loop: Header=BB0_3 Depth=1
	v_mov_b32_e32 v22, 0
	v_mov_b32_e32 v23, 0
	s_mov_b32 s13, exec_lo
	v_cmpx_ne_u32_e32 0, v0
	s_cbranch_execz .LBB0_48
; %bb.45:                               ;   in Loop: Header=BB0_3 Depth=1
	v_mov_b32_e32 v22, 0
	v_mov_b32_e32 v23, 0
	s_mov_b64 s[4:5], 0
	s_mov_b32 s16, 0
	s_mov_b64 s[10:11], 0
	.p2align	6
.LBB0_46:                               ;   Parent Loop BB0_3 Depth=1
                                        ; =>  This Inner Loop Header: Depth=2
	v_add_co_u32 v26, vcc_lo, v24, s10
	v_add_co_ci_u32_e64 v27, null, s11, v25, vcc_lo
	s_add_u32 s10, s10, 1
	s_addc_u32 s11, s11, 0
	v_cmp_eq_u32_e32 vcc_lo, s10, v0
	global_load_ubyte v10, v[26:27], off
	v_mov_b32_e32 v27, s15
	s_waitcnt vmcnt(0)
	v_and_b32_e32 v26, 0xffff, v10
	v_lshlrev_b64 v[26:27], s4, v[26:27]
	s_add_u32 s4, s4, 8
	s_addc_u32 s5, s5, 0
	s_or_b32 s16, vcc_lo, s16
	v_or_b32_e32 v23, v27, v23
	v_or_b32_e32 v22, v26, v22
	s_andn2_b32 exec_lo, exec_lo, s16
	s_cbranch_execnz .LBB0_46
; %bb.47:                               ;   in Loop: Header=BB0_3 Depth=1
	s_or_b32 exec_lo, exec_lo, s16
.LBB0_48:                               ;   in Loop: Header=BB0_3 Depth=1
	s_or_b32 exec_lo, exec_lo, s13
	v_mov_b32_e32 v27, v25
	v_mov_b32_e32 v26, v24
                                        ; implicit-def: $vgpr0
.LBB0_49:                               ;   in Loop: Header=BB0_3 Depth=1
	s_or_saveexec_b32 s4, s12
	v_mov_b32_e32 v10, 0
	s_xor_b32 exec_lo, exec_lo, s4
	s_cbranch_execz .LBB0_51
; %bb.50:                               ;   in Loop: Header=BB0_3 Depth=1
	global_load_dwordx2 v[22:23], v[24:25], off
	v_add_nc_u32_e32 v10, -8, v0
.LBB0_51:                               ;   in Loop: Header=BB0_3 Depth=1
	s_or_b32 exec_lo, exec_lo, s4
	s_mov_b32 s4, exec_lo
	v_cmpx_gt_u32_e32 8, v10
	s_xor_b32 s10, exec_lo, s4
	s_cbranch_execz .LBB0_57
; %bb.52:                               ;   in Loop: Header=BB0_3 Depth=1
	v_mov_b32_e32 v24, 0
	v_mov_b32_e32 v25, 0
	s_mov_b32 s11, exec_lo
	v_cmpx_ne_u32_e32 0, v10
	s_cbranch_execz .LBB0_56
; %bb.53:                               ;   in Loop: Header=BB0_3 Depth=1
	v_mov_b32_e32 v24, 0
	v_mov_b32_e32 v25, 0
	s_mov_b64 s[4:5], 0
	s_mov_b32 s12, 0
	.p2align	6
.LBB0_54:                               ;   Parent Loop BB0_3 Depth=1
                                        ; =>  This Inner Loop Header: Depth=2
	global_load_ubyte v0, v[26:27], off
	v_mov_b32_e32 v29, s15
	v_add_nc_u32_e32 v10, -1, v10
	v_add_co_u32 v26, vcc_lo, v26, 1
	v_add_co_ci_u32_e64 v27, null, 0, v27, vcc_lo
	v_cmp_eq_u32_e32 vcc_lo, 0, v10
	s_waitcnt vmcnt(0)
	v_and_b32_e32 v28, 0xffff, v0
	v_lshlrev_b64 v[28:29], s4, v[28:29]
	s_add_u32 s4, s4, 8
	s_addc_u32 s5, s5, 0
	s_or_b32 s12, vcc_lo, s12
	v_or_b32_e32 v25, v29, v25
	v_or_b32_e32 v24, v28, v24
	s_andn2_b32 exec_lo, exec_lo, s12
	s_cbranch_execnz .LBB0_54
; %bb.55:                               ;   in Loop: Header=BB0_3 Depth=1
	s_or_b32 exec_lo, exec_lo, s12
.LBB0_56:                               ;   in Loop: Header=BB0_3 Depth=1
	s_or_b32 exec_lo, exec_lo, s11
                                        ; implicit-def: $vgpr26_vgpr27
.LBB0_57:                               ;   in Loop: Header=BB0_3 Depth=1
	s_andn2_saveexec_b32 s4, s10
	s_cbranch_execz .LBB0_59
; %bb.58:                               ;   in Loop: Header=BB0_3 Depth=1
	global_load_dwordx2 v[24:25], v[26:27], off
.LBB0_59:                               ;   in Loop: Header=BB0_3 Depth=1
	s_or_b32 exec_lo, exec_lo, s4
	v_readfirstlane_b32 s4, v36
	v_mov_b32_e32 v34, 0
	v_mov_b32_e32 v35, 0
	v_cmp_eq_u32_e64 s4, s4, v36
	s_and_saveexec_b32 s5, s4
	s_cbranch_execz .LBB0_65
; %bb.60:                               ;   in Loop: Header=BB0_3 Depth=1
	s_waitcnt lgkmcnt(0)
	global_load_dwordx2 v[28:29], v11, s[6:7] offset:24 glc dlc
	s_waitcnt vmcnt(0)
	buffer_gl1_inv
	buffer_gl0_inv
	s_clause 0x1
	global_load_dwordx2 v[26:27], v11, s[6:7] offset:40
	global_load_dwordx2 v[34:35], v11, s[6:7]
	s_mov_b32 s10, exec_lo
	s_waitcnt vmcnt(1)
	v_and_b32_e32 v0, v27, v29
	v_and_b32_e32 v10, v26, v28
	v_mul_lo_u32 v0, v0, 24
	v_mul_hi_u32 v26, v10, 24
	v_mul_lo_u32 v10, v10, 24
	v_add_nc_u32_e32 v0, v26, v0
	s_waitcnt vmcnt(0)
	v_add_co_u32 v26, vcc_lo, v34, v10
	v_add_co_ci_u32_e64 v27, null, v35, v0, vcc_lo
	global_load_dwordx2 v[26:27], v[26:27], off glc dlc
	s_waitcnt vmcnt(0)
	global_atomic_cmpswap_x2 v[34:35], v11, v[26:29], s[6:7] offset:24 glc
	s_waitcnt vmcnt(0)
	buffer_gl1_inv
	buffer_gl0_inv
	v_cmpx_ne_u64_e64 v[34:35], v[28:29]
	s_cbranch_execz .LBB0_64
; %bb.61:                               ;   in Loop: Header=BB0_3 Depth=1
	s_mov_b32 s11, 0
	.p2align	6
.LBB0_62:                               ;   Parent Loop BB0_3 Depth=1
                                        ; =>  This Inner Loop Header: Depth=2
	s_sleep 1
	s_clause 0x1
	global_load_dwordx2 v[26:27], v11, s[6:7] offset:40
	global_load_dwordx2 v[37:38], v11, s[6:7]
	v_mov_b32_e32 v28, v34
	v_mov_b32_e32 v29, v35
	s_waitcnt vmcnt(1)
	v_and_b32_e32 v0, v26, v28
	v_and_b32_e32 v10, v27, v29
	s_waitcnt vmcnt(0)
	v_mad_u64_u32 v[34:35], null, v0, 24, v[37:38]
	v_mov_b32_e32 v0, v35
	v_mad_u64_u32 v[26:27], null, v10, 24, v[0:1]
	v_mov_b32_e32 v35, v26
	global_load_dwordx2 v[26:27], v[34:35], off glc dlc
	s_waitcnt vmcnt(0)
	global_atomic_cmpswap_x2 v[34:35], v11, v[26:29], s[6:7] offset:24 glc
	s_waitcnt vmcnt(0)
	buffer_gl1_inv
	buffer_gl0_inv
	v_cmp_eq_u64_e32 vcc_lo, v[34:35], v[28:29]
	s_or_b32 s11, vcc_lo, s11
	s_andn2_b32 exec_lo, exec_lo, s11
	s_cbranch_execnz .LBB0_62
; %bb.63:                               ;   in Loop: Header=BB0_3 Depth=1
	s_or_b32 exec_lo, exec_lo, s11
.LBB0_64:                               ;   in Loop: Header=BB0_3 Depth=1
	s_or_b32 exec_lo, exec_lo, s10
.LBB0_65:                               ;   in Loop: Header=BB0_3 Depth=1
	s_or_b32 exec_lo, exec_lo, s5
	s_waitcnt lgkmcnt(0)
	s_clause 0x1
	global_load_dwordx2 v[37:38], v11, s[6:7] offset:40
	global_load_dwordx4 v[26:29], v11, s[6:7]
	v_readfirstlane_b32 s11, v35
	v_readfirstlane_b32 s10, v34
	s_mov_b32 s5, exec_lo
	s_waitcnt vmcnt(1)
	v_readfirstlane_b32 s12, v37
	v_readfirstlane_b32 s13, v38
	s_and_b64 s[12:13], s[12:13], s[10:11]
	s_mul_i32 s16, s13, 24
	s_mul_hi_u32 s17, s12, 24
	s_mul_i32 s18, s12, 24
	s_add_i32 s17, s17, s16
	s_waitcnt vmcnt(0)
	v_add_co_u32 v34, vcc_lo, v26, s18
	v_add_co_ci_u32_e64 v35, null, s17, v27, vcc_lo
	s_and_saveexec_b32 s16, s4
	s_cbranch_execz .LBB0_67
; %bb.66:                               ;   in Loop: Header=BB0_3 Depth=1
	v_mov_b32_e32 v10, s5
	global_store_dwordx4 v[34:35], v[10:13], off offset:8
.LBB0_67:                               ;   in Loop: Header=BB0_3 Depth=1
	s_or_b32 exec_lo, exec_lo, s16
	v_cmp_gt_u64_e32 vcc_lo, 57, v[4:5]
	s_lshl_b64 s[12:13], s[12:13], 12
	v_and_b32_e32 v6, 0xffffff1f, v6
	v_lshl_add_u32 v37, v32, 2, 28
	v_cndmask_b32_e32 v10, 0, v2, vcc_lo
	v_add_co_u32 v0, vcc_lo, v28, s12
	v_add_co_ci_u32_e64 v28, null, s13, v29, vcc_lo
	v_or_b32_e32 v6, v6, v10
	v_lshlrev_b32_e32 v29, 6, v36
	v_readfirstlane_b32 s12, v0
	v_readfirstlane_b32 s13, v28
	v_and_or_b32 v6, 0x1e0, v37, v6
	global_store_dwordx4 v29, v[14:17], s[12:13] offset:16
	global_store_dwordx4 v29, v[6:9], s[12:13]
	global_store_dwordx4 v29, v[18:21], s[12:13] offset:32
	global_store_dwordx4 v29, v[22:25], s[12:13] offset:48
	s_and_saveexec_b32 s5, s4
	s_cbranch_execz .LBB0_75
; %bb.68:                               ;   in Loop: Header=BB0_3 Depth=1
	s_clause 0x1
	global_load_dwordx2 v[18:19], v11, s[6:7] offset:32 glc dlc
	global_load_dwordx2 v[6:7], v11, s[6:7] offset:40
	v_mov_b32_e32 v16, s10
	v_mov_b32_e32 v17, s11
	s_waitcnt vmcnt(0)
	v_readfirstlane_b32 s12, v6
	v_readfirstlane_b32 s13, v7
	s_and_b64 s[12:13], s[12:13], s[10:11]
	s_mul_i32 s13, s13, 24
	s_mul_hi_u32 s16, s12, 24
	s_mul_i32 s12, s12, 24
	s_add_i32 s16, s16, s13
	v_add_co_u32 v14, vcc_lo, v26, s12
	v_add_co_ci_u32_e64 v15, null, s16, v27, vcc_lo
	s_mov_b32 s12, exec_lo
	global_store_dwordx2 v[14:15], v[18:19], off
	s_waitcnt_vscnt null, 0x0
	global_atomic_cmpswap_x2 v[8:9], v11, v[16:19], s[6:7] offset:32 glc
	s_waitcnt vmcnt(0)
	v_cmpx_ne_u64_e64 v[8:9], v[18:19]
	s_cbranch_execz .LBB0_71
; %bb.69:                               ;   in Loop: Header=BB0_3 Depth=1
	s_mov_b32 s13, 0
.LBB0_70:                               ;   Parent Loop BB0_3 Depth=1
                                        ; =>  This Inner Loop Header: Depth=2
	v_mov_b32_e32 v6, s10
	v_mov_b32_e32 v7, s11
	s_sleep 1
	global_store_dwordx2 v[14:15], v[8:9], off
	s_waitcnt_vscnt null, 0x0
	global_atomic_cmpswap_x2 v[6:7], v11, v[6:9], s[6:7] offset:32 glc
	s_waitcnt vmcnt(0)
	v_cmp_eq_u64_e32 vcc_lo, v[6:7], v[8:9]
	v_mov_b32_e32 v9, v7
	v_mov_b32_e32 v8, v6
	s_or_b32 s13, vcc_lo, s13
	s_andn2_b32 exec_lo, exec_lo, s13
	s_cbranch_execnz .LBB0_70
.LBB0_71:                               ;   in Loop: Header=BB0_3 Depth=1
	s_or_b32 exec_lo, exec_lo, s12
	global_load_dwordx2 v[6:7], v11, s[6:7] offset:16
	s_mov_b32 s13, exec_lo
	s_mov_b32 s12, exec_lo
	v_mbcnt_lo_u32_b32 v8, s13, 0
	v_cmpx_eq_u32_e32 0, v8
	s_cbranch_execz .LBB0_73
; %bb.72:                               ;   in Loop: Header=BB0_3 Depth=1
	s_bcnt1_i32_b32 s13, s13
	v_mov_b32_e32 v10, s13
	s_waitcnt vmcnt(0)
	global_atomic_add_x2 v[6:7], v[10:11], off offset:8
.LBB0_73:                               ;   in Loop: Header=BB0_3 Depth=1
	s_or_b32 exec_lo, exec_lo, s12
	s_waitcnt vmcnt(0)
	global_load_dwordx2 v[8:9], v[6:7], off offset:16
	s_waitcnt vmcnt(0)
	v_cmp_eq_u64_e32 vcc_lo, 0, v[8:9]
	s_cbranch_vccnz .LBB0_75
; %bb.74:                               ;   in Loop: Header=BB0_3 Depth=1
	global_load_dword v10, v[6:7], off offset:24
	s_waitcnt vmcnt(0)
	v_readfirstlane_b32 s12, v10
	s_waitcnt_vscnt null, 0x0
	global_store_dwordx2 v[8:9], v[10:11], off
	s_and_b32 m0, s12, 0x7fffff
	s_sendmsg sendmsg(MSG_INTERRUPT)
.LBB0_75:                               ;   in Loop: Header=BB0_3 Depth=1
	s_or_b32 exec_lo, exec_lo, s5
	v_add_co_u32 v6, vcc_lo, v0, v29
	v_add_co_ci_u32_e64 v7, null, 0, v28, vcc_lo
	s_branch .LBB0_79
	.p2align	6
.LBB0_76:                               ;   in Loop: Header=BB0_79 Depth=2
	s_or_b32 exec_lo, exec_lo, s5
	v_readfirstlane_b32 s5, v0
	s_cmp_eq_u32 s5, 0
	s_cbranch_scc1 .LBB0_78
; %bb.77:                               ;   in Loop: Header=BB0_79 Depth=2
	s_sleep 1
	s_cbranch_execnz .LBB0_79
	s_branch .LBB0_81
	.p2align	6
.LBB0_78:                               ;   in Loop: Header=BB0_3 Depth=1
	s_branch .LBB0_81
.LBB0_79:                               ;   Parent Loop BB0_3 Depth=1
                                        ; =>  This Inner Loop Header: Depth=2
	v_mov_b32_e32 v0, 1
	s_and_saveexec_b32 s5, s4
	s_cbranch_execz .LBB0_76
; %bb.80:                               ;   in Loop: Header=BB0_79 Depth=2
	global_load_dword v0, v[34:35], off offset:20 glc dlc
	s_waitcnt vmcnt(0)
	buffer_gl1_inv
	buffer_gl0_inv
	v_and_b32_e32 v0, 1, v0
	s_branch .LBB0_76
.LBB0_81:                               ;   in Loop: Header=BB0_3 Depth=1
	global_load_dwordx2 v[6:7], v[6:7], off
	s_and_saveexec_b32 s12, s4
	s_cbranch_execz .LBB0_2
; %bb.82:                               ;   in Loop: Header=BB0_3 Depth=1
	s_clause 0x2
	global_load_dwordx2 v[8:9], v11, s[6:7] offset:40
	global_load_dwordx2 v[18:19], v11, s[6:7] offset:24 glc dlc
	global_load_dwordx2 v[14:15], v11, s[6:7]
	s_waitcnt vmcnt(2)
	v_readfirstlane_b32 s16, v8
	v_readfirstlane_b32 s17, v9
	s_add_u32 s13, s16, 1
	s_addc_u32 s18, s17, 0
	s_add_u32 s4, s13, s10
	s_addc_u32 s5, s18, s11
	s_cmp_eq_u64 s[4:5], 0
	s_cselect_b32 s5, s18, s5
	s_cselect_b32 s4, s13, s4
	v_mov_b32_e32 v17, s5
	s_and_b64 s[10:11], s[4:5], s[16:17]
	v_mov_b32_e32 v16, s4
	s_mul_i32 s11, s11, 24
	s_mul_hi_u32 s13, s10, 24
	s_mul_i32 s10, s10, 24
	s_add_i32 s13, s13, s11
	s_waitcnt vmcnt(0)
	v_add_co_u32 v8, vcc_lo, v14, s10
	v_add_co_ci_u32_e64 v9, null, s13, v15, vcc_lo
	global_store_dwordx2 v[8:9], v[18:19], off
	s_waitcnt_vscnt null, 0x0
	global_atomic_cmpswap_x2 v[16:17], v11, v[16:19], s[6:7] offset:24 glc
	s_waitcnt vmcnt(0)
	v_cmp_ne_u64_e32 vcc_lo, v[16:17], v[18:19]
	s_and_b32 exec_lo, exec_lo, vcc_lo
	s_cbranch_execz .LBB0_2
; %bb.83:                               ;   in Loop: Header=BB0_3 Depth=1
	s_mov_b32 s10, 0
.LBB0_84:                               ;   Parent Loop BB0_3 Depth=1
                                        ; =>  This Inner Loop Header: Depth=2
	v_mov_b32_e32 v14, s4
	v_mov_b32_e32 v15, s5
	s_sleep 1
	global_store_dwordx2 v[8:9], v[16:17], off
	s_waitcnt_vscnt null, 0x0
	global_atomic_cmpswap_x2 v[14:15], v11, v[14:17], s[6:7] offset:24 glc
	s_waitcnt vmcnt(0)
	v_cmp_eq_u64_e32 vcc_lo, v[14:15], v[16:17]
	v_mov_b32_e32 v17, v15
	v_mov_b32_e32 v16, v14
	s_or_b32 s10, vcc_lo, s10
	s_andn2_b32 exec_lo, exec_lo, s10
	s_cbranch_execnz .LBB0_84
	s_branch .LBB0_2
.LBB0_85:
	s_or_b32 exec_lo, exec_lo, s14
.LBB0_86:
	s_waitcnt vmcnt(0)
	v_mov_b32_e32 v0, v6
	v_mov_b32_e32 v1, v7
	s_waitcnt lgkmcnt(0)
	s_setpc_b64 s[30:31]
.LBB0_87:
                                        ; implicit-def: $vgpr6_vgpr7
	s_cbranch_execz .LBB0_86
; %bb.88:
	s_load_dwordx2 s[6:7], s[8:9], 0x50
	v_readfirstlane_b32 s4, v36
	v_mov_b32_e32 v8, 0
	v_mov_b32_e32 v9, 0
	v_cmp_eq_u32_e64 s4, s4, v36
	s_and_saveexec_b32 s5, s4
	s_cbranch_execz .LBB0_94
; %bb.89:
	v_mov_b32_e32 v0, 0
	s_mov_b32 s8, exec_lo
	s_waitcnt lgkmcnt(0)
	global_load_dwordx2 v[6:7], v0, s[6:7] offset:24 glc dlc
	s_waitcnt vmcnt(0)
	buffer_gl1_inv
	buffer_gl0_inv
	s_clause 0x1
	global_load_dwordx2 v[4:5], v0, s[6:7] offset:40
	global_load_dwordx2 v[8:9], v0, s[6:7]
	s_waitcnt vmcnt(1)
	v_and_b32_e32 v2, v5, v7
	v_and_b32_e32 v4, v4, v6
	v_mul_lo_u32 v2, v2, 24
	v_mul_hi_u32 v5, v4, 24
	v_mul_lo_u32 v4, v4, 24
	v_add_nc_u32_e32 v2, v5, v2
	s_waitcnt vmcnt(0)
	v_add_co_u32 v4, vcc_lo, v8, v4
	v_add_co_ci_u32_e64 v5, null, v9, v2, vcc_lo
	global_load_dwordx2 v[4:5], v[4:5], off glc dlc
	s_waitcnt vmcnt(0)
	global_atomic_cmpswap_x2 v[8:9], v0, v[4:7], s[6:7] offset:24 glc
	s_waitcnt vmcnt(0)
	buffer_gl1_inv
	buffer_gl0_inv
	v_cmpx_ne_u64_e64 v[8:9], v[6:7]
	s_cbranch_execz .LBB0_93
; %bb.90:
	s_mov_b32 s9, 0
	.p2align	6
.LBB0_91:                               ; =>This Inner Loop Header: Depth=1
	s_sleep 1
	s_clause 0x1
	global_load_dwordx2 v[4:5], v0, s[6:7] offset:40
	global_load_dwordx2 v[10:11], v0, s[6:7]
	v_mov_b32_e32 v6, v8
	v_mov_b32_e32 v7, v9
	s_waitcnt vmcnt(1)
	v_and_b32_e32 v2, v4, v6
	v_and_b32_e32 v4, v5, v7
	s_waitcnt vmcnt(0)
	v_mad_u64_u32 v[8:9], null, v2, 24, v[10:11]
	v_mov_b32_e32 v2, v9
	v_mad_u64_u32 v[4:5], null, v4, 24, v[2:3]
	v_mov_b32_e32 v9, v4
	global_load_dwordx2 v[4:5], v[8:9], off glc dlc
	s_waitcnt vmcnt(0)
	global_atomic_cmpswap_x2 v[8:9], v0, v[4:7], s[6:7] offset:24 glc
	s_waitcnt vmcnt(0)
	buffer_gl1_inv
	buffer_gl0_inv
	v_cmp_eq_u64_e32 vcc_lo, v[8:9], v[6:7]
	s_or_b32 s9, vcc_lo, s9
	s_andn2_b32 exec_lo, exec_lo, s9
	s_cbranch_execnz .LBB0_91
; %bb.92:
	s_or_b32 exec_lo, exec_lo, s9
.LBB0_93:
	s_or_b32 exec_lo, exec_lo, s8
.LBB0_94:
	s_or_b32 exec_lo, exec_lo, s5
	v_mov_b32_e32 v2, 0
	v_readfirstlane_b32 s9, v9
	v_readfirstlane_b32 s8, v8
	s_mov_b32 s5, exec_lo
	s_waitcnt lgkmcnt(0)
	s_clause 0x1
	global_load_dwordx2 v[10:11], v2, s[6:7] offset:40
	global_load_dwordx4 v[4:7], v2, s[6:7]
	s_waitcnt vmcnt(1)
	v_readfirstlane_b32 s10, v10
	v_readfirstlane_b32 s11, v11
	s_and_b64 s[10:11], s[10:11], s[8:9]
	s_mul_i32 s12, s11, 24
	s_mul_hi_u32 s13, s10, 24
	s_mul_i32 s14, s10, 24
	s_add_i32 s13, s13, s12
	s_waitcnt vmcnt(0)
	v_add_co_u32 v8, vcc_lo, v4, s14
	v_add_co_ci_u32_e64 v9, null, s13, v5, vcc_lo
	s_and_saveexec_b32 s12, s4
	s_cbranch_execz .LBB0_96
; %bb.95:
	v_mov_b32_e32 v10, s5
	v_mov_b32_e32 v11, v2
	;; [unrolled: 1-line block ×4, first 2 shown]
	global_store_dwordx4 v[8:9], v[10:13], off offset:8
.LBB0_96:
	s_or_b32 exec_lo, exec_lo, s12
	s_lshl_b64 s[10:11], s[10:11], 12
	v_lshlrev_b32_e32 v14, 6, v36
	v_add_co_u32 v6, vcc_lo, v6, s10
	v_add_co_ci_u32_e64 v7, null, s11, v7, vcc_lo
	s_mov_b32 s12, 0
	v_readfirstlane_b32 s10, v6
	v_add_co_u32 v6, vcc_lo, v6, v14
	s_mov_b32 s13, s12
	s_mov_b32 s14, s12
	;; [unrolled: 1-line block ×3, first 2 shown]
	v_and_or_b32 v0, 0xffffff1f, v3, 32
	v_mov_b32_e32 v3, v2
	v_readfirstlane_b32 s11, v7
	v_mov_b32_e32 v10, s12
	v_add_co_ci_u32_e64 v7, null, 0, v7, vcc_lo
	v_mov_b32_e32 v11, s13
	v_mov_b32_e32 v12, s14
	;; [unrolled: 1-line block ×3, first 2 shown]
	global_store_dwordx4 v14, v[0:3], s[10:11]
	global_store_dwordx4 v14, v[10:13], s[10:11] offset:16
	global_store_dwordx4 v14, v[10:13], s[10:11] offset:32
	global_store_dwordx4 v14, v[10:13], s[10:11] offset:48
	s_and_saveexec_b32 s5, s4
	s_cbranch_execz .LBB0_104
; %bb.97:
	v_mov_b32_e32 v10, 0
	v_mov_b32_e32 v11, s8
	;; [unrolled: 1-line block ×3, first 2 shown]
	s_mov_b32 s10, exec_lo
	s_clause 0x1
	global_load_dwordx2 v[13:14], v10, s[6:7] offset:32 glc dlc
	global_load_dwordx2 v[0:1], v10, s[6:7] offset:40
	s_waitcnt vmcnt(0)
	v_and_b32_e32 v1, s9, v1
	v_and_b32_e32 v0, s8, v0
	v_mul_lo_u32 v1, v1, 24
	v_mul_hi_u32 v2, v0, 24
	v_mul_lo_u32 v0, v0, 24
	v_add_nc_u32_e32 v1, v2, v1
	v_add_co_u32 v4, vcc_lo, v4, v0
	v_add_co_ci_u32_e64 v5, null, v5, v1, vcc_lo
	global_store_dwordx2 v[4:5], v[13:14], off
	s_waitcnt_vscnt null, 0x0
	global_atomic_cmpswap_x2 v[2:3], v10, v[11:14], s[6:7] offset:32 glc
	s_waitcnt vmcnt(0)
	v_cmpx_ne_u64_e64 v[2:3], v[13:14]
	s_cbranch_execz .LBB0_100
; %bb.98:
	s_mov_b32 s11, 0
.LBB0_99:                               ; =>This Inner Loop Header: Depth=1
	v_mov_b32_e32 v0, s8
	v_mov_b32_e32 v1, s9
	s_sleep 1
	global_store_dwordx2 v[4:5], v[2:3], off
	s_waitcnt_vscnt null, 0x0
	global_atomic_cmpswap_x2 v[0:1], v10, v[0:3], s[6:7] offset:32 glc
	s_waitcnt vmcnt(0)
	v_cmp_eq_u64_e32 vcc_lo, v[0:1], v[2:3]
	v_mov_b32_e32 v3, v1
	v_mov_b32_e32 v2, v0
	s_or_b32 s11, vcc_lo, s11
	s_andn2_b32 exec_lo, exec_lo, s11
	s_cbranch_execnz .LBB0_99
.LBB0_100:
	s_or_b32 exec_lo, exec_lo, s10
	v_mov_b32_e32 v3, 0
	s_mov_b32 s11, exec_lo
	s_mov_b32 s10, exec_lo
	v_mbcnt_lo_u32_b32 v2, s11, 0
	global_load_dwordx2 v[0:1], v3, s[6:7] offset:16
	v_cmpx_eq_u32_e32 0, v2
	s_cbranch_execz .LBB0_102
; %bb.101:
	s_bcnt1_i32_b32 s11, s11
	v_mov_b32_e32 v2, s11
	s_waitcnt vmcnt(0)
	global_atomic_add_x2 v[0:1], v[2:3], off offset:8
.LBB0_102:
	s_or_b32 exec_lo, exec_lo, s10
	s_waitcnt vmcnt(0)
	global_load_dwordx2 v[2:3], v[0:1], off offset:16
	s_waitcnt vmcnt(0)
	v_cmp_eq_u64_e32 vcc_lo, 0, v[2:3]
	s_cbranch_vccnz .LBB0_104
; %bb.103:
	global_load_dword v0, v[0:1], off offset:24
	v_mov_b32_e32 v1, 0
	s_waitcnt vmcnt(0)
	v_readfirstlane_b32 s10, v0
	s_waitcnt_vscnt null, 0x0
	global_store_dwordx2 v[2:3], v[0:1], off
	s_and_b32 m0, s10, 0x7fffff
	s_sendmsg sendmsg(MSG_INTERRUPT)
.LBB0_104:
	s_or_b32 exec_lo, exec_lo, s5
	s_branch .LBB0_108
	.p2align	6
.LBB0_105:                              ;   in Loop: Header=BB0_108 Depth=1
	s_or_b32 exec_lo, exec_lo, s5
	v_readfirstlane_b32 s5, v0
	s_cmp_eq_u32 s5, 0
	s_cbranch_scc1 .LBB0_107
; %bb.106:                              ;   in Loop: Header=BB0_108 Depth=1
	s_sleep 1
	s_cbranch_execnz .LBB0_108
	s_branch .LBB0_110
	.p2align	6
.LBB0_107:
	s_branch .LBB0_110
.LBB0_108:                              ; =>This Inner Loop Header: Depth=1
	v_mov_b32_e32 v0, 1
	s_and_saveexec_b32 s5, s4
	s_cbranch_execz .LBB0_105
; %bb.109:                              ;   in Loop: Header=BB0_108 Depth=1
	global_load_dword v0, v[8:9], off offset:20 glc dlc
	s_waitcnt vmcnt(0)
	buffer_gl1_inv
	buffer_gl0_inv
	v_and_b32_e32 v0, 1, v0
	s_branch .LBB0_105
.LBB0_110:
	global_load_dwordx2 v[6:7], v[6:7], off
	s_and_saveexec_b32 s10, s4
	s_cbranch_execz .LBB0_114
; %bb.111:
	v_mov_b32_e32 v8, 0
	s_clause 0x2
	global_load_dwordx2 v[0:1], v8, s[6:7] offset:40
	global_load_dwordx2 v[11:12], v8, s[6:7] offset:24 glc dlc
	global_load_dwordx2 v[2:3], v8, s[6:7]
	s_waitcnt vmcnt(2)
	v_readfirstlane_b32 s12, v0
	v_readfirstlane_b32 s13, v1
	s_add_u32 s11, s12, 1
	s_addc_u32 s14, s13, 0
	s_add_u32 s4, s11, s8
	s_addc_u32 s5, s14, s9
	s_cmp_eq_u64 s[4:5], 0
	s_cselect_b32 s5, s14, s5
	s_cselect_b32 s4, s11, s4
	v_mov_b32_e32 v10, s5
	s_and_b64 s[8:9], s[4:5], s[12:13]
	v_mov_b32_e32 v9, s4
	s_mul_i32 s9, s9, 24
	s_mul_hi_u32 s11, s8, 24
	s_mul_i32 s8, s8, 24
	s_add_i32 s11, s11, s9
	s_waitcnt vmcnt(0)
	v_add_co_u32 v4, vcc_lo, v2, s8
	v_add_co_ci_u32_e64 v5, null, s11, v3, vcc_lo
	global_store_dwordx2 v[4:5], v[11:12], off
	s_waitcnt_vscnt null, 0x0
	global_atomic_cmpswap_x2 v[2:3], v8, v[9:12], s[6:7] offset:24 glc
	s_waitcnt vmcnt(0)
	v_cmp_ne_u64_e32 vcc_lo, v[2:3], v[11:12]
	s_and_b32 exec_lo, exec_lo, vcc_lo
	s_cbranch_execz .LBB0_114
; %bb.112:
	s_mov_b32 s8, 0
.LBB0_113:                              ; =>This Inner Loop Header: Depth=1
	v_mov_b32_e32 v0, s4
	v_mov_b32_e32 v1, s5
	s_sleep 1
	global_store_dwordx2 v[4:5], v[2:3], off
	s_waitcnt_vscnt null, 0x0
	global_atomic_cmpswap_x2 v[0:1], v8, v[0:3], s[6:7] offset:24 glc
	s_waitcnt vmcnt(0)
	v_cmp_eq_u64_e32 vcc_lo, v[0:1], v[2:3]
	v_mov_b32_e32 v3, v1
	v_mov_b32_e32 v2, v0
	s_or_b32 s8, vcc_lo, s8
	s_andn2_b32 exec_lo, exec_lo, s8
	s_cbranch_execnz .LBB0_113
.LBB0_114:
	s_or_b32 exec_lo, exec_lo, s10
	s_waitcnt vmcnt(0)
	v_mov_b32_e32 v0, v6
	v_mov_b32_e32 v1, v7
	s_waitcnt lgkmcnt(0)
	s_setpc_b64 s[30:31]
.Lfunc_end0:
	.size	__ockl_printf_append_string_n, .Lfunc_end0-__ockl_printf_append_string_n
                                        ; -- End function
	.set .L__ockl_printf_append_string_n.num_vgpr, 39
	.set .L__ockl_printf_append_string_n.num_agpr, 0
	.set .L__ockl_printf_append_string_n.numbered_sgpr, 32
	.set .L__ockl_printf_append_string_n.num_named_barrier, 0
	.set .L__ockl_printf_append_string_n.private_seg_size, 0
	.set .L__ockl_printf_append_string_n.uses_vcc, 1
	.set .L__ockl_printf_append_string_n.uses_flat_scratch, 0
	.set .L__ockl_printf_append_string_n.has_dyn_sized_stack, 0
	.set .L__ockl_printf_append_string_n.has_recursion, 0
	.set .L__ockl_printf_append_string_n.has_indirect_call, 0
	.section	.AMDGPU.csdata,"",@progbits
; Function info:
; codeLenInByte = 4600
; TotalNumSgprs: 34
; NumVgprs: 39
; ScratchSize: 0
; MemoryBound: 0
	.text
	.p2align	2                               ; -- Begin function __ockl_printf_append_args
	.type	__ockl_printf_append_args,@function
__ockl_printf_append_args:              ; @__ockl_printf_append_args
; %bb.0:
	s_waitcnt vmcnt(0) expcnt(0) lgkmcnt(0)
	s_load_dwordx2 s[6:7], s[8:9], 0x50
	v_mbcnt_lo_u32_b32 v15, -1, 0
	v_mov_b32_e32 v11, 0
	v_mov_b32_e32 v12, 0
	v_readfirstlane_b32 s4, v15
	v_cmp_eq_u32_e64 s4, s4, v15
	s_and_saveexec_b32 s5, s4
	s_cbranch_execz .LBB1_6
; %bb.1:
	v_mov_b32_e32 v5, 0
	s_mov_b32 s8, exec_lo
	s_waitcnt lgkmcnt(0)
	global_load_dwordx2 v[8:9], v5, s[6:7] offset:24 glc dlc
	s_waitcnt vmcnt(0)
	buffer_gl1_inv
	buffer_gl0_inv
	s_clause 0x1
	global_load_dwordx2 v[6:7], v5, s[6:7] offset:40
	global_load_dwordx2 v[10:11], v5, s[6:7]
	s_waitcnt vmcnt(1)
	v_and_b32_e32 v7, v7, v9
	v_and_b32_e32 v6, v6, v8
	v_mul_lo_u32 v7, v7, 24
	v_mul_hi_u32 v12, v6, 24
	v_mul_lo_u32 v6, v6, 24
	v_add_nc_u32_e32 v7, v12, v7
	s_waitcnt vmcnt(0)
	v_add_co_u32 v6, vcc_lo, v10, v6
	v_add_co_ci_u32_e64 v7, null, v11, v7, vcc_lo
	global_load_dwordx2 v[6:7], v[6:7], off glc dlc
	s_waitcnt vmcnt(0)
	global_atomic_cmpswap_x2 v[11:12], v5, v[6:9], s[6:7] offset:24 glc
	s_waitcnt vmcnt(0)
	buffer_gl1_inv
	buffer_gl0_inv
	v_cmpx_ne_u64_e64 v[11:12], v[8:9]
	s_cbranch_execz .LBB1_5
; %bb.2:
	s_mov_b32 s9, 0
	.p2align	6
.LBB1_3:                                ; =>This Inner Loop Header: Depth=1
	s_sleep 1
	s_clause 0x1
	global_load_dwordx2 v[6:7], v5, s[6:7] offset:40
	global_load_dwordx2 v[13:14], v5, s[6:7]
	v_mov_b32_e32 v8, v11
	v_mov_b32_e32 v9, v12
	s_waitcnt vmcnt(1)
	v_and_b32_e32 v6, v6, v8
	v_and_b32_e32 v7, v7, v9
	s_waitcnt vmcnt(0)
	v_mad_u64_u32 v[10:11], null, v6, 24, v[13:14]
	v_mov_b32_e32 v6, v11
	v_mad_u64_u32 v[6:7], null, v7, 24, v[6:7]
	v_mov_b32_e32 v11, v6
	global_load_dwordx2 v[6:7], v[10:11], off glc dlc
	s_waitcnt vmcnt(0)
	global_atomic_cmpswap_x2 v[11:12], v5, v[6:9], s[6:7] offset:24 glc
	s_waitcnt vmcnt(0)
	buffer_gl1_inv
	buffer_gl0_inv
	v_cmp_eq_u64_e32 vcc_lo, v[11:12], v[8:9]
	s_or_b32 s9, vcc_lo, s9
	s_andn2_b32 exec_lo, exec_lo, s9
	s_cbranch_execnz .LBB1_3
; %bb.4:
	s_or_b32 exec_lo, exec_lo, s9
.LBB1_5:
	s_or_b32 exec_lo, exec_lo, s8
.LBB1_6:
	s_or_b32 exec_lo, exec_lo, s5
	v_mov_b32_e32 v10, 0
	v_readfirstlane_b32 s9, v12
	v_readfirstlane_b32 s8, v11
	s_mov_b32 s5, exec_lo
	s_waitcnt lgkmcnt(0)
	s_clause 0x1
	global_load_dwordx2 v[13:14], v10, s[6:7] offset:40
	global_load_dwordx4 v[5:8], v10, s[6:7]
	s_waitcnt vmcnt(1)
	v_readfirstlane_b32 s10, v13
	v_readfirstlane_b32 s11, v14
	s_and_b64 s[10:11], s[10:11], s[8:9]
	s_mul_i32 s12, s11, 24
	s_mul_hi_u32 s13, s10, 24
	s_mul_i32 s14, s10, 24
	s_add_i32 s13, s13, s12
	s_waitcnt vmcnt(0)
	v_add_co_u32 v13, vcc_lo, v5, s14
	v_add_co_ci_u32_e64 v14, null, s13, v6, vcc_lo
	s_and_saveexec_b32 s12, s4
	s_cbranch_execz .LBB1_8
; %bb.7:
	v_mov_b32_e32 v9, s5
	v_mov_b32_e32 v11, 2
	;; [unrolled: 1-line block ×3, first 2 shown]
	global_store_dwordx4 v[13:14], v[9:12], off offset:8
.LBB1_8:
	s_or_b32 exec_lo, exec_lo, s12
	v_or_b32_e32 v9, 2, v0
	v_cmp_eq_u32_e32 vcc_lo, 0, v4
	s_lshl_b64 s[10:11], s[10:11], 12
	s_mov_b32 s12, 0
	v_lshlrev_b32_e32 v11, 6, v15
	s_mov_b32 s13, s12
	v_cndmask_b32_e32 v0, v9, v0, vcc_lo
	v_add_co_u32 v4, vcc_lo, v7, s10
	v_add_co_ci_u32_e64 v7, null, s11, v8, vcc_lo
	s_mov_b32 s14, s12
	s_mov_b32 s15, s12
	v_and_or_b32 v0, 0xffffff1f, v0, 32
	v_readfirstlane_b32 s10, v4
	v_readfirstlane_b32 s11, v7
	v_mov_b32_e32 v7, s12
	v_mov_b32_e32 v8, s13
	;; [unrolled: 1-line block ×4, first 2 shown]
	global_store_dwordx4 v11, v[0:3], s[10:11]
	global_store_dwordx4 v11, v[7:10], s[10:11] offset:16
	global_store_dwordx4 v11, v[7:10], s[10:11] offset:32
	global_store_dwordx4 v11, v[7:10], s[10:11] offset:48
	s_and_saveexec_b32 s5, s4
	s_cbranch_execz .LBB1_16
; %bb.9:
	v_mov_b32_e32 v7, 0
	v_mov_b32_e32 v8, s8
	;; [unrolled: 1-line block ×3, first 2 shown]
	s_mov_b32 s10, exec_lo
	s_clause 0x1
	global_load_dwordx2 v[10:11], v7, s[6:7] offset:32 glc dlc
	global_load_dwordx2 v[0:1], v7, s[6:7] offset:40
	s_waitcnt vmcnt(0)
	v_and_b32_e32 v1, s9, v1
	v_and_b32_e32 v0, s8, v0
	v_mul_lo_u32 v1, v1, 24
	v_mul_hi_u32 v2, v0, 24
	v_mul_lo_u32 v0, v0, 24
	v_add_nc_u32_e32 v1, v2, v1
	v_add_co_u32 v4, vcc_lo, v5, v0
	v_add_co_ci_u32_e64 v5, null, v6, v1, vcc_lo
	global_store_dwordx2 v[4:5], v[10:11], off
	s_waitcnt_vscnt null, 0x0
	global_atomic_cmpswap_x2 v[2:3], v7, v[8:11], s[6:7] offset:32 glc
	s_waitcnt vmcnt(0)
	v_cmpx_ne_u64_e64 v[2:3], v[10:11]
	s_cbranch_execz .LBB1_12
; %bb.10:
	s_mov_b32 s11, 0
.LBB1_11:                               ; =>This Inner Loop Header: Depth=1
	v_mov_b32_e32 v0, s8
	v_mov_b32_e32 v1, s9
	s_sleep 1
	global_store_dwordx2 v[4:5], v[2:3], off
	s_waitcnt_vscnt null, 0x0
	global_atomic_cmpswap_x2 v[0:1], v7, v[0:3], s[6:7] offset:32 glc
	s_waitcnt vmcnt(0)
	v_cmp_eq_u64_e32 vcc_lo, v[0:1], v[2:3]
	v_mov_b32_e32 v3, v1
	v_mov_b32_e32 v2, v0
	s_or_b32 s11, vcc_lo, s11
	s_andn2_b32 exec_lo, exec_lo, s11
	s_cbranch_execnz .LBB1_11
.LBB1_12:
	s_or_b32 exec_lo, exec_lo, s10
	v_mov_b32_e32 v3, 0
	s_mov_b32 s11, exec_lo
	s_mov_b32 s10, exec_lo
	v_mbcnt_lo_u32_b32 v2, s11, 0
	global_load_dwordx2 v[0:1], v3, s[6:7] offset:16
	v_cmpx_eq_u32_e32 0, v2
	s_cbranch_execz .LBB1_14
; %bb.13:
	s_bcnt1_i32_b32 s11, s11
	v_mov_b32_e32 v2, s11
	s_waitcnt vmcnt(0)
	global_atomic_add_x2 v[0:1], v[2:3], off offset:8
.LBB1_14:
	s_or_b32 exec_lo, exec_lo, s10
	s_waitcnt vmcnt(0)
	global_load_dwordx2 v[2:3], v[0:1], off offset:16
	s_waitcnt vmcnt(0)
	v_cmp_eq_u64_e32 vcc_lo, 0, v[2:3]
	s_cbranch_vccnz .LBB1_16
; %bb.15:
	global_load_dword v0, v[0:1], off offset:24
	v_mov_b32_e32 v1, 0
	s_waitcnt vmcnt(0)
	v_readfirstlane_b32 s10, v0
	s_waitcnt_vscnt null, 0x0
	global_store_dwordx2 v[2:3], v[0:1], off
	s_and_b32 m0, s10, 0x7fffff
	s_sendmsg sendmsg(MSG_INTERRUPT)
.LBB1_16:
	s_or_b32 exec_lo, exec_lo, s5
	s_branch .LBB1_20
	.p2align	6
.LBB1_17:                               ;   in Loop: Header=BB1_20 Depth=1
	s_or_b32 exec_lo, exec_lo, s5
	v_readfirstlane_b32 s5, v0
	s_cmp_eq_u32 s5, 0
	s_cbranch_scc1 .LBB1_19
; %bb.18:                               ;   in Loop: Header=BB1_20 Depth=1
	s_sleep 1
	s_cbranch_execnz .LBB1_20
	s_branch .LBB1_22
	.p2align	6
.LBB1_19:
	s_branch .LBB1_22
.LBB1_20:                               ; =>This Inner Loop Header: Depth=1
	v_mov_b32_e32 v0, 1
	s_and_saveexec_b32 s5, s4
	s_cbranch_execz .LBB1_17
; %bb.21:                               ;   in Loop: Header=BB1_20 Depth=1
	global_load_dword v0, v[13:14], off offset:20 glc dlc
	s_waitcnt vmcnt(0)
	buffer_gl1_inv
	buffer_gl0_inv
	v_and_b32_e32 v0, 1, v0
	s_branch .LBB1_17
.LBB1_22:
	s_and_saveexec_b32 s10, s4
	s_cbranch_execz .LBB1_26
; %bb.23:
	v_mov_b32_e32 v6, 0
	s_clause 0x2
	global_load_dwordx2 v[0:1], v6, s[6:7] offset:40
	global_load_dwordx2 v[9:10], v6, s[6:7] offset:24 glc dlc
	global_load_dwordx2 v[2:3], v6, s[6:7]
	s_waitcnt vmcnt(2)
	v_readfirstlane_b32 s12, v0
	v_readfirstlane_b32 s13, v1
	s_add_u32 s11, s12, 1
	s_addc_u32 s14, s13, 0
	s_add_u32 s4, s11, s8
	s_addc_u32 s5, s14, s9
	s_cmp_eq_u64 s[4:5], 0
	s_cselect_b32 s5, s14, s5
	s_cselect_b32 s4, s11, s4
	v_mov_b32_e32 v8, s5
	s_and_b64 s[8:9], s[4:5], s[12:13]
	v_mov_b32_e32 v7, s4
	s_mul_i32 s9, s9, 24
	s_mul_hi_u32 s11, s8, 24
	s_mul_i32 s8, s8, 24
	s_add_i32 s11, s11, s9
	s_waitcnt vmcnt(0)
	v_add_co_u32 v4, vcc_lo, v2, s8
	v_add_co_ci_u32_e64 v5, null, s11, v3, vcc_lo
	global_store_dwordx2 v[4:5], v[9:10], off
	s_waitcnt_vscnt null, 0x0
	global_atomic_cmpswap_x2 v[2:3], v6, v[7:10], s[6:7] offset:24 glc
	s_waitcnt vmcnt(0)
	v_cmp_ne_u64_e32 vcc_lo, v[2:3], v[9:10]
	s_and_b32 exec_lo, exec_lo, vcc_lo
	s_cbranch_execz .LBB1_26
; %bb.24:
	s_mov_b32 s8, 0
.LBB1_25:                               ; =>This Inner Loop Header: Depth=1
	v_mov_b32_e32 v0, s4
	v_mov_b32_e32 v1, s5
	s_sleep 1
	global_store_dwordx2 v[4:5], v[2:3], off
	s_waitcnt_vscnt null, 0x0
	global_atomic_cmpswap_x2 v[0:1], v6, v[0:3], s[6:7] offset:24 glc
	s_waitcnt vmcnt(0)
	v_cmp_eq_u64_e32 vcc_lo, v[0:1], v[2:3]
	v_mov_b32_e32 v3, v1
	v_mov_b32_e32 v2, v0
	s_or_b32 s8, vcc_lo, s8
	s_andn2_b32 exec_lo, exec_lo, s8
	s_cbranch_execnz .LBB1_25
.LBB1_26:
	s_or_b32 exec_lo, exec_lo, s10
	s_waitcnt lgkmcnt(0)
	s_setpc_b64 s[30:31]
.Lfunc_end1:
	.size	__ockl_printf_append_args, .Lfunc_end1-__ockl_printf_append_args
                                        ; -- End function
	.set .L__ockl_printf_append_args.num_vgpr, 16
	.set .L__ockl_printf_append_args.num_agpr, 0
	.set .L__ockl_printf_append_args.numbered_sgpr, 32
	.set .L__ockl_printf_append_args.num_named_barrier, 0
	.set .L__ockl_printf_append_args.private_seg_size, 0
	.set .L__ockl_printf_append_args.uses_vcc, 1
	.set .L__ockl_printf_append_args.uses_flat_scratch, 0
	.set .L__ockl_printf_append_args.has_dyn_sized_stack, 0
	.set .L__ockl_printf_append_args.has_recursion, 0
	.set .L__ockl_printf_append_args.has_indirect_call, 0
	.section	.AMDGPU.csdata,"",@progbits
; Function info:
; codeLenInByte = 1380
; TotalNumSgprs: 34
; NumVgprs: 16
; ScratchSize: 0
; MemoryBound: 0
	.text
	.p2align	2                               ; -- Begin function _ZL14no_device_codePKciS0_iS0_
	.type	_ZL14no_device_codePKciS0_iS0_,@function
_ZL14no_device_codePKciS0_iS0_:         ; @_ZL14no_device_codePKciS0_iS0_
; %bb.0:
	s_waitcnt vmcnt(0) expcnt(0) lgkmcnt(0)
	s_mov_b32 s24, s33
	s_mov_b32 s33, s32
	s_xor_saveexec_b32 s4, -1
	buffer_store_dword v39, off, s[0:3], s33 ; 4-byte Folded Spill
	s_mov_b32 exec_lo, s4
	v_writelane_b32 v39, s30, 0
	s_addk_i32 s32, 0x200
	v_writelane_b32 v39, s31, 1
	s_load_dwordx2 s[6:7], s[8:9], 0x50
	v_mbcnt_lo_u32_b32 v29, -1, 0
	v_mov_b32_e32 v6, 0
	v_mov_b32_e32 v7, 0
	v_readfirstlane_b32 s4, v29
	v_cmp_eq_u32_e64 s4, s4, v29
	s_and_saveexec_b32 s5, s4
	s_cbranch_execz .LBB2_6
; %bb.1:
	v_mov_b32_e32 v0, 0
	s_mov_b32 s10, exec_lo
	s_waitcnt lgkmcnt(0)
	global_load_dwordx2 v[3:4], v0, s[6:7] offset:24 glc dlc
	s_waitcnt vmcnt(0)
	buffer_gl1_inv
	buffer_gl0_inv
	s_clause 0x1
	global_load_dwordx2 v[1:2], v0, s[6:7] offset:40
	global_load_dwordx2 v[5:6], v0, s[6:7]
	s_waitcnt vmcnt(1)
	v_and_b32_e32 v2, v2, v4
	v_and_b32_e32 v1, v1, v3
	v_mul_lo_u32 v2, v2, 24
	v_mul_hi_u32 v7, v1, 24
	v_mul_lo_u32 v1, v1, 24
	v_add_nc_u32_e32 v2, v7, v2
	s_waitcnt vmcnt(0)
	v_add_co_u32 v1, vcc_lo, v5, v1
	v_add_co_ci_u32_e64 v2, null, v6, v2, vcc_lo
	global_load_dwordx2 v[1:2], v[1:2], off glc dlc
	s_waitcnt vmcnt(0)
	global_atomic_cmpswap_x2 v[6:7], v0, v[1:4], s[6:7] offset:24 glc
	s_waitcnt vmcnt(0)
	buffer_gl1_inv
	buffer_gl0_inv
	v_cmpx_ne_u64_e64 v[6:7], v[3:4]
	s_cbranch_execz .LBB2_5
; %bb.2:
	s_mov_b32 s11, 0
	.p2align	6
.LBB2_3:                                ; =>This Inner Loop Header: Depth=1
	s_sleep 1
	s_clause 0x1
	global_load_dwordx2 v[1:2], v0, s[6:7] offset:40
	global_load_dwordx2 v[8:9], v0, s[6:7]
	v_mov_b32_e32 v3, v6
	v_mov_b32_e32 v4, v7
	s_waitcnt vmcnt(1)
	v_and_b32_e32 v1, v1, v3
	v_and_b32_e32 v2, v2, v4
	s_waitcnt vmcnt(0)
	v_mad_u64_u32 v[5:6], null, v1, 24, v[8:9]
	v_mov_b32_e32 v1, v6
	v_mad_u64_u32 v[1:2], null, v2, 24, v[1:2]
	v_mov_b32_e32 v6, v1
	global_load_dwordx2 v[1:2], v[5:6], off glc dlc
	s_waitcnt vmcnt(0)
	global_atomic_cmpswap_x2 v[6:7], v0, v[1:4], s[6:7] offset:24 glc
	s_waitcnt vmcnt(0)
	buffer_gl1_inv
	buffer_gl0_inv
	v_cmp_eq_u64_e32 vcc_lo, v[6:7], v[3:4]
	s_or_b32 s11, vcc_lo, s11
	s_andn2_b32 exec_lo, exec_lo, s11
	s_cbranch_execnz .LBB2_3
; %bb.4:
	s_or_b32 exec_lo, exec_lo, s11
.LBB2_5:
	s_or_b32 exec_lo, exec_lo, s10
.LBB2_6:
	s_or_b32 exec_lo, exec_lo, s5
	v_mov_b32_e32 v5, 0
	v_readfirstlane_b32 s11, v7
	v_readfirstlane_b32 s10, v6
	s_mov_b32 s5, exec_lo
	s_waitcnt lgkmcnt(0)
	s_clause 0x1
	global_load_dwordx2 v[8:9], v5, s[6:7] offset:40
	global_load_dwordx4 v[0:3], v5, s[6:7]
	s_waitcnt vmcnt(1)
	v_readfirstlane_b32 s12, v8
	v_readfirstlane_b32 s13, v9
	s_and_b64 s[12:13], s[12:13], s[10:11]
	s_mul_i32 s14, s13, 24
	s_mul_hi_u32 s15, s12, 24
	s_mul_i32 s16, s12, 24
	s_add_i32 s15, s15, s14
	s_waitcnt vmcnt(0)
	v_add_co_u32 v8, vcc_lo, v0, s16
	v_add_co_ci_u32_e64 v9, null, s15, v1, vcc_lo
	s_and_saveexec_b32 s14, s4
	s_cbranch_execz .LBB2_8
; %bb.7:
	v_mov_b32_e32 v4, s5
	v_mov_b32_e32 v6, 2
	;; [unrolled: 1-line block ×3, first 2 shown]
	global_store_dwordx4 v[8:9], v[4:7], off offset:8
.LBB2_8:
	s_or_b32 exec_lo, exec_lo, s14
	s_lshl_b64 s[12:13], s[12:13], 12
	v_lshlrev_b32_e32 v28, 6, v29
	v_add_co_u32 v2, vcc_lo, v2, s12
	v_add_co_ci_u32_e64 v3, null, s13, v3, vcc_lo
	s_mov_b32 s12, 0
	v_add_co_u32 v10, vcc_lo, v2, v28
	s_mov_b32 s13, s12
	s_mov_b32 s14, s12
	s_mov_b32 s15, s12
	v_mov_b32_e32 v4, 33
	v_mov_b32_e32 v6, v5
	;; [unrolled: 1-line block ×3, first 2 shown]
	v_readfirstlane_b32 s16, v2
	v_readfirstlane_b32 s17, v3
	v_mov_b32_e32 v12, s12
	v_add_co_ci_u32_e64 v11, null, 0, v3, vcc_lo
	v_mov_b32_e32 v13, s13
	v_mov_b32_e32 v14, s14
	;; [unrolled: 1-line block ×3, first 2 shown]
	global_store_dwordx4 v28, v[4:7], s[16:17]
	global_store_dwordx4 v28, v[12:15], s[16:17] offset:16
	global_store_dwordx4 v28, v[12:15], s[16:17] offset:32
	;; [unrolled: 1-line block ×3, first 2 shown]
	s_and_saveexec_b32 s5, s4
	s_cbranch_execz .LBB2_16
; %bb.9:
	v_mov_b32_e32 v6, 0
	v_mov_b32_e32 v12, s10
	;; [unrolled: 1-line block ×3, first 2 shown]
	s_mov_b32 s12, exec_lo
	s_clause 0x1
	global_load_dwordx2 v[14:15], v6, s[6:7] offset:32 glc dlc
	global_load_dwordx2 v[2:3], v6, s[6:7] offset:40
	s_waitcnt vmcnt(0)
	v_and_b32_e32 v3, s11, v3
	v_and_b32_e32 v2, s10, v2
	v_mul_lo_u32 v3, v3, 24
	v_mul_hi_u32 v4, v2, 24
	v_mul_lo_u32 v2, v2, 24
	v_add_nc_u32_e32 v3, v4, v3
	v_add_co_u32 v4, vcc_lo, v0, v2
	v_add_co_ci_u32_e64 v5, null, v1, v3, vcc_lo
	global_store_dwordx2 v[4:5], v[14:15], off
	s_waitcnt_vscnt null, 0x0
	global_atomic_cmpswap_x2 v[2:3], v6, v[12:15], s[6:7] offset:32 glc
	s_waitcnt vmcnt(0)
	v_cmpx_ne_u64_e64 v[2:3], v[14:15]
	s_cbranch_execz .LBB2_12
; %bb.10:
	s_mov_b32 s13, 0
.LBB2_11:                               ; =>This Inner Loop Header: Depth=1
	v_mov_b32_e32 v0, s10
	v_mov_b32_e32 v1, s11
	s_sleep 1
	global_store_dwordx2 v[4:5], v[2:3], off
	s_waitcnt_vscnt null, 0x0
	global_atomic_cmpswap_x2 v[0:1], v6, v[0:3], s[6:7] offset:32 glc
	s_waitcnt vmcnt(0)
	v_cmp_eq_u64_e32 vcc_lo, v[0:1], v[2:3]
	v_mov_b32_e32 v3, v1
	v_mov_b32_e32 v2, v0
	s_or_b32 s13, vcc_lo, s13
	s_andn2_b32 exec_lo, exec_lo, s13
	s_cbranch_execnz .LBB2_11
.LBB2_12:
	s_or_b32 exec_lo, exec_lo, s12
	v_mov_b32_e32 v3, 0
	s_mov_b32 s13, exec_lo
	s_mov_b32 s12, exec_lo
	v_mbcnt_lo_u32_b32 v2, s13, 0
	global_load_dwordx2 v[0:1], v3, s[6:7] offset:16
	v_cmpx_eq_u32_e32 0, v2
	s_cbranch_execz .LBB2_14
; %bb.13:
	s_bcnt1_i32_b32 s13, s13
	v_mov_b32_e32 v2, s13
	s_waitcnt vmcnt(0)
	global_atomic_add_x2 v[0:1], v[2:3], off offset:8
.LBB2_14:
	s_or_b32 exec_lo, exec_lo, s12
	s_waitcnt vmcnt(0)
	global_load_dwordx2 v[2:3], v[0:1], off offset:16
	s_waitcnt vmcnt(0)
	v_cmp_eq_u64_e32 vcc_lo, 0, v[2:3]
	s_cbranch_vccnz .LBB2_16
; %bb.15:
	global_load_dword v0, v[0:1], off offset:24
	v_mov_b32_e32 v1, 0
	s_waitcnt vmcnt(0)
	v_readfirstlane_b32 s12, v0
	s_waitcnt_vscnt null, 0x0
	global_store_dwordx2 v[2:3], v[0:1], off
	s_and_b32 m0, s12, 0x7fffff
	s_sendmsg sendmsg(MSG_INTERRUPT)
.LBB2_16:
	s_or_b32 exec_lo, exec_lo, s5
	s_branch .LBB2_20
	.p2align	6
.LBB2_17:                               ;   in Loop: Header=BB2_20 Depth=1
	s_or_b32 exec_lo, exec_lo, s5
	v_readfirstlane_b32 s5, v0
	s_cmp_eq_u32 s5, 0
	s_cbranch_scc1 .LBB2_19
; %bb.18:                               ;   in Loop: Header=BB2_20 Depth=1
	s_sleep 1
	s_cbranch_execnz .LBB2_20
	s_branch .LBB2_22
	.p2align	6
.LBB2_19:
	s_branch .LBB2_22
.LBB2_20:                               ; =>This Inner Loop Header: Depth=1
	v_mov_b32_e32 v0, 1
	s_and_saveexec_b32 s5, s4
	s_cbranch_execz .LBB2_17
; %bb.21:                               ;   in Loop: Header=BB2_20 Depth=1
	global_load_dword v0, v[8:9], off offset:20 glc dlc
	s_waitcnt vmcnt(0)
	buffer_gl1_inv
	buffer_gl0_inv
	v_and_b32_e32 v0, 1, v0
	s_branch .LBB2_17
.LBB2_22:
	global_load_dwordx2 v[4:5], v[10:11], off
	s_and_saveexec_b32 s12, s4
	s_cbranch_execz .LBB2_26
; %bb.23:
	v_mov_b32_e32 v8, 0
	s_clause 0x2
	global_load_dwordx2 v[0:1], v8, s[6:7] offset:40
	global_load_dwordx2 v[11:12], v8, s[6:7] offset:24 glc dlc
	global_load_dwordx2 v[2:3], v8, s[6:7]
	s_waitcnt vmcnt(2)
	v_readfirstlane_b32 s14, v0
	v_readfirstlane_b32 s15, v1
	s_add_u32 s13, s14, 1
	s_addc_u32 s16, s15, 0
	s_add_u32 s4, s13, s10
	s_addc_u32 s5, s16, s11
	s_cmp_eq_u64 s[4:5], 0
	s_cselect_b32 s5, s16, s5
	s_cselect_b32 s4, s13, s4
	v_mov_b32_e32 v10, s5
	s_and_b64 s[10:11], s[4:5], s[14:15]
	v_mov_b32_e32 v9, s4
	s_mul_i32 s11, s11, 24
	s_mul_hi_u32 s13, s10, 24
	s_mul_i32 s10, s10, 24
	s_add_i32 s13, s13, s11
	s_waitcnt vmcnt(0)
	v_add_co_u32 v6, vcc_lo, v2, s10
	v_add_co_ci_u32_e64 v7, null, s13, v3, vcc_lo
	global_store_dwordx2 v[6:7], v[11:12], off
	s_waitcnt_vscnt null, 0x0
	global_atomic_cmpswap_x2 v[2:3], v8, v[9:12], s[6:7] offset:24 glc
	s_waitcnt vmcnt(0)
	v_cmp_ne_u64_e32 vcc_lo, v[2:3], v[11:12]
	s_and_b32 exec_lo, exec_lo, vcc_lo
	s_cbranch_execz .LBB2_26
; %bb.24:
	s_mov_b32 s10, 0
.LBB2_25:                               ; =>This Inner Loop Header: Depth=1
	v_mov_b32_e32 v0, s4
	v_mov_b32_e32 v1, s5
	s_sleep 1
	global_store_dwordx2 v[6:7], v[2:3], off
	s_waitcnt_vscnt null, 0x0
	global_atomic_cmpswap_x2 v[0:1], v8, v[0:3], s[6:7] offset:24 glc
	s_waitcnt vmcnt(0)
	v_cmp_eq_u64_e32 vcc_lo, v[0:1], v[2:3]
	v_mov_b32_e32 v3, v1
	v_mov_b32_e32 v2, v0
	s_or_b32 s10, vcc_lo, s10
	s_andn2_b32 exec_lo, exec_lo, s10
	s_cbranch_execnz .LBB2_25
.LBB2_26:
	s_or_b32 exec_lo, exec_lo, s12
	s_getpc_b64 s[10:11]
	s_add_u32 s10, s10, .str.2@rel32@lo+4
	s_addc_u32 s11, s11, .str.2@rel32@hi+12
	s_cmp_lg_u64 s[10:11], 0
	s_cbranch_scc0 .LBB2_104
; %bb.27:
	s_waitcnt vmcnt(0)
	v_and_b32_e32 v30, 2, v4
	v_mov_b32_e32 v7, 0
	v_and_b32_e32 v0, -3, v4
	v_mov_b32_e32 v1, v5
	v_mov_b32_e32 v8, 2
	;; [unrolled: 1-line block ×3, first 2 shown]
	s_mov_b64 s[12:13], 0x4d
	s_branch .LBB2_29
.LBB2_28:                               ;   in Loop: Header=BB2_29 Depth=1
	s_or_b32 exec_lo, exec_lo, s18
	s_sub_u32 s12, s12, s14
	s_subb_u32 s13, s13, s15
	s_add_u32 s10, s10, s14
	s_addc_u32 s11, s11, s15
	s_cmp_lg_u64 s[12:13], 0
	s_cbranch_scc0 .LBB2_105
.LBB2_29:                               ; =>This Loop Header: Depth=1
                                        ;     Child Loop BB2_32 Depth 2
                                        ;     Child Loop BB2_39 Depth 2
	;; [unrolled: 1-line block ×11, first 2 shown]
	v_cmp_lt_u64_e64 s4, s[12:13], 56
	v_cmp_gt_u64_e64 s16, s[12:13], 7
	s_and_b32 s4, s4, exec_lo
	s_cselect_b32 s15, s13, 0
	s_cselect_b32 s14, s12, 56
	s_add_u32 s4, s10, 8
	s_addc_u32 s5, s11, 0
	s_and_b32 vcc_lo, exec_lo, s16
	s_cbranch_vccnz .LBB2_34
; %bb.30:                               ;   in Loop: Header=BB2_29 Depth=1
	v_mov_b32_e32 v2, 0
	v_mov_b32_e32 v3, 0
	s_cmp_eq_u64 s[12:13], 0
	s_cbranch_scc1 .LBB2_33
; %bb.31:                               ;   in Loop: Header=BB2_29 Depth=1
	s_lshl_b64 s[4:5], s[14:15], 3
	s_mov_b64 s[16:17], 0
	s_mov_b64 s[18:19], s[10:11]
.LBB2_32:                               ;   Parent Loop BB2_29 Depth=1
                                        ; =>  This Inner Loop Header: Depth=2
	global_load_ubyte v6, v7, s[18:19]
	s_waitcnt vmcnt(0)
	v_and_b32_e32 v6, 0xffff, v6
	v_lshlrev_b64 v[10:11], s16, v[6:7]
	s_add_u32 s16, s16, 8
	s_addc_u32 s17, s17, 0
	s_add_u32 s18, s18, 1
	s_addc_u32 s19, s19, 0
	s_cmp_lg_u32 s4, s16
	v_or_b32_e32 v2, v10, v2
	v_or_b32_e32 v3, v11, v3
	s_cbranch_scc1 .LBB2_32
.LBB2_33:                               ;   in Loop: Header=BB2_29 Depth=1
	s_mov_b64 s[4:5], s[10:11]
	s_mov_b32 s20, 0
	s_cbranch_execz .LBB2_35
	s_branch .LBB2_36
.LBB2_34:                               ;   in Loop: Header=BB2_29 Depth=1
	s_mov_b32 s20, 0
.LBB2_35:                               ;   in Loop: Header=BB2_29 Depth=1
	global_load_dwordx2 v[2:3], v7, s[10:11]
	s_add_i32 s20, s14, -8
.LBB2_36:                               ;   in Loop: Header=BB2_29 Depth=1
	s_add_u32 s16, s4, 8
	s_addc_u32 s17, s5, 0
	s_cmp_gt_u32 s20, 7
	s_cbranch_scc1 .LBB2_41
; %bb.37:                               ;   in Loop: Header=BB2_29 Depth=1
	v_mov_b32_e32 v10, 0
	v_mov_b32_e32 v11, 0
	s_cmp_eq_u32 s20, 0
	s_cbranch_scc1 .LBB2_40
; %bb.38:                               ;   in Loop: Header=BB2_29 Depth=1
	s_mov_b64 s[16:17], 0
	s_mov_b64 s[18:19], 0
.LBB2_39:                               ;   Parent Loop BB2_29 Depth=1
                                        ; =>  This Inner Loop Header: Depth=2
	s_add_u32 s22, s4, s18
	s_addc_u32 s23, s5, s19
	s_add_u32 s18, s18, 1
	global_load_ubyte v6, v7, s[22:23]
	s_addc_u32 s19, s19, 0
	s_waitcnt vmcnt(0)
	v_and_b32_e32 v6, 0xffff, v6
	v_lshlrev_b64 v[12:13], s16, v[6:7]
	s_add_u32 s16, s16, 8
	s_addc_u32 s17, s17, 0
	s_cmp_lg_u32 s20, s18
	v_or_b32_e32 v10, v12, v10
	v_or_b32_e32 v11, v13, v11
	s_cbranch_scc1 .LBB2_39
.LBB2_40:                               ;   in Loop: Header=BB2_29 Depth=1
	s_mov_b64 s[16:17], s[4:5]
	s_mov_b32 s21, 0
	s_cbranch_execz .LBB2_42
	s_branch .LBB2_43
.LBB2_41:                               ;   in Loop: Header=BB2_29 Depth=1
                                        ; implicit-def: $vgpr10_vgpr11
	s_mov_b32 s21, 0
.LBB2_42:                               ;   in Loop: Header=BB2_29 Depth=1
	global_load_dwordx2 v[10:11], v7, s[4:5]
	s_add_i32 s21, s20, -8
.LBB2_43:                               ;   in Loop: Header=BB2_29 Depth=1
	s_add_u32 s4, s16, 8
	s_addc_u32 s5, s17, 0
	s_cmp_gt_u32 s21, 7
	s_cbranch_scc1 .LBB2_48
; %bb.44:                               ;   in Loop: Header=BB2_29 Depth=1
	v_mov_b32_e32 v12, 0
	v_mov_b32_e32 v13, 0
	s_cmp_eq_u32 s21, 0
	s_cbranch_scc1 .LBB2_47
; %bb.45:                               ;   in Loop: Header=BB2_29 Depth=1
	s_mov_b64 s[4:5], 0
	s_mov_b64 s[18:19], 0
.LBB2_46:                               ;   Parent Loop BB2_29 Depth=1
                                        ; =>  This Inner Loop Header: Depth=2
	s_add_u32 s22, s16, s18
	s_addc_u32 s23, s17, s19
	s_add_u32 s18, s18, 1
	global_load_ubyte v6, v7, s[22:23]
	s_addc_u32 s19, s19, 0
	s_waitcnt vmcnt(0)
	v_and_b32_e32 v6, 0xffff, v6
	v_lshlrev_b64 v[14:15], s4, v[6:7]
	s_add_u32 s4, s4, 8
	s_addc_u32 s5, s5, 0
	s_cmp_lg_u32 s21, s18
	v_or_b32_e32 v12, v14, v12
	v_or_b32_e32 v13, v15, v13
	s_cbranch_scc1 .LBB2_46
.LBB2_47:                               ;   in Loop: Header=BB2_29 Depth=1
	s_mov_b64 s[4:5], s[16:17]
	s_mov_b32 s20, 0
	s_cbranch_execz .LBB2_49
	s_branch .LBB2_50
.LBB2_48:                               ;   in Loop: Header=BB2_29 Depth=1
	s_mov_b32 s20, 0
.LBB2_49:                               ;   in Loop: Header=BB2_29 Depth=1
	global_load_dwordx2 v[12:13], v7, s[16:17]
	s_add_i32 s20, s21, -8
.LBB2_50:                               ;   in Loop: Header=BB2_29 Depth=1
	s_add_u32 s16, s4, 8
	s_addc_u32 s17, s5, 0
	s_cmp_gt_u32 s20, 7
	s_cbranch_scc1 .LBB2_55
; %bb.51:                               ;   in Loop: Header=BB2_29 Depth=1
	v_mov_b32_e32 v14, 0
	v_mov_b32_e32 v15, 0
	s_cmp_eq_u32 s20, 0
	s_cbranch_scc1 .LBB2_54
; %bb.52:                               ;   in Loop: Header=BB2_29 Depth=1
	s_mov_b64 s[16:17], 0
	s_mov_b64 s[18:19], 0
.LBB2_53:                               ;   Parent Loop BB2_29 Depth=1
                                        ; =>  This Inner Loop Header: Depth=2
	s_add_u32 s22, s4, s18
	s_addc_u32 s23, s5, s19
	s_add_u32 s18, s18, 1
	global_load_ubyte v6, v7, s[22:23]
	s_addc_u32 s19, s19, 0
	s_waitcnt vmcnt(0)
	v_and_b32_e32 v6, 0xffff, v6
	v_lshlrev_b64 v[16:17], s16, v[6:7]
	s_add_u32 s16, s16, 8
	s_addc_u32 s17, s17, 0
	s_cmp_lg_u32 s20, s18
	v_or_b32_e32 v14, v16, v14
	v_or_b32_e32 v15, v17, v15
	s_cbranch_scc1 .LBB2_53
.LBB2_54:                               ;   in Loop: Header=BB2_29 Depth=1
	s_mov_b64 s[16:17], s[4:5]
	s_mov_b32 s21, 0
	s_cbranch_execz .LBB2_56
	s_branch .LBB2_57
.LBB2_55:                               ;   in Loop: Header=BB2_29 Depth=1
                                        ; implicit-def: $vgpr14_vgpr15
	s_mov_b32 s21, 0
.LBB2_56:                               ;   in Loop: Header=BB2_29 Depth=1
	global_load_dwordx2 v[14:15], v7, s[4:5]
	s_add_i32 s21, s20, -8
.LBB2_57:                               ;   in Loop: Header=BB2_29 Depth=1
	s_add_u32 s4, s16, 8
	s_addc_u32 s5, s17, 0
	s_cmp_gt_u32 s21, 7
	s_cbranch_scc1 .LBB2_62
; %bb.58:                               ;   in Loop: Header=BB2_29 Depth=1
	v_mov_b32_e32 v16, 0
	v_mov_b32_e32 v17, 0
	s_cmp_eq_u32 s21, 0
	s_cbranch_scc1 .LBB2_61
; %bb.59:                               ;   in Loop: Header=BB2_29 Depth=1
	s_mov_b64 s[4:5], 0
	s_mov_b64 s[18:19], 0
.LBB2_60:                               ;   Parent Loop BB2_29 Depth=1
                                        ; =>  This Inner Loop Header: Depth=2
	s_add_u32 s22, s16, s18
	s_addc_u32 s23, s17, s19
	s_add_u32 s18, s18, 1
	global_load_ubyte v6, v7, s[22:23]
	s_addc_u32 s19, s19, 0
	s_waitcnt vmcnt(0)
	v_and_b32_e32 v6, 0xffff, v6
	v_lshlrev_b64 v[18:19], s4, v[6:7]
	s_add_u32 s4, s4, 8
	s_addc_u32 s5, s5, 0
	s_cmp_lg_u32 s21, s18
	v_or_b32_e32 v16, v18, v16
	v_or_b32_e32 v17, v19, v17
	s_cbranch_scc1 .LBB2_60
.LBB2_61:                               ;   in Loop: Header=BB2_29 Depth=1
	s_mov_b64 s[4:5], s[16:17]
	s_mov_b32 s20, 0
	s_cbranch_execz .LBB2_63
	s_branch .LBB2_64
.LBB2_62:                               ;   in Loop: Header=BB2_29 Depth=1
	s_mov_b32 s20, 0
.LBB2_63:                               ;   in Loop: Header=BB2_29 Depth=1
	global_load_dwordx2 v[16:17], v7, s[16:17]
	s_add_i32 s20, s21, -8
.LBB2_64:                               ;   in Loop: Header=BB2_29 Depth=1
	s_add_u32 s16, s4, 8
	s_addc_u32 s17, s5, 0
	s_cmp_gt_u32 s20, 7
	s_cbranch_scc1 .LBB2_69
; %bb.65:                               ;   in Loop: Header=BB2_29 Depth=1
	v_mov_b32_e32 v18, 0
	v_mov_b32_e32 v19, 0
	s_cmp_eq_u32 s20, 0
	s_cbranch_scc1 .LBB2_68
; %bb.66:                               ;   in Loop: Header=BB2_29 Depth=1
	s_mov_b64 s[16:17], 0
	s_mov_b64 s[18:19], 0
.LBB2_67:                               ;   Parent Loop BB2_29 Depth=1
                                        ; =>  This Inner Loop Header: Depth=2
	s_add_u32 s22, s4, s18
	s_addc_u32 s23, s5, s19
	s_add_u32 s18, s18, 1
	global_load_ubyte v6, v7, s[22:23]
	s_addc_u32 s19, s19, 0
	s_waitcnt vmcnt(0)
	v_and_b32_e32 v6, 0xffff, v6
	v_lshlrev_b64 v[20:21], s16, v[6:7]
	s_add_u32 s16, s16, 8
	s_addc_u32 s17, s17, 0
	s_cmp_lg_u32 s20, s18
	v_or_b32_e32 v18, v20, v18
	v_or_b32_e32 v19, v21, v19
	s_cbranch_scc1 .LBB2_67
.LBB2_68:                               ;   in Loop: Header=BB2_29 Depth=1
	s_mov_b64 s[16:17], s[4:5]
	s_mov_b32 s21, 0
	s_cbranch_execz .LBB2_70
	s_branch .LBB2_71
.LBB2_69:                               ;   in Loop: Header=BB2_29 Depth=1
                                        ; implicit-def: $vgpr18_vgpr19
	s_mov_b32 s21, 0
.LBB2_70:                               ;   in Loop: Header=BB2_29 Depth=1
	global_load_dwordx2 v[18:19], v7, s[4:5]
	s_add_i32 s21, s20, -8
.LBB2_71:                               ;   in Loop: Header=BB2_29 Depth=1
	s_cmp_gt_u32 s21, 7
	s_cbranch_scc1 .LBB2_76
; %bb.72:                               ;   in Loop: Header=BB2_29 Depth=1
	v_mov_b32_e32 v20, 0
	v_mov_b32_e32 v21, 0
	s_cmp_eq_u32 s21, 0
	s_cbranch_scc1 .LBB2_75
; %bb.73:                               ;   in Loop: Header=BB2_29 Depth=1
	s_mov_b64 s[4:5], 0
	s_mov_b64 s[18:19], s[16:17]
.LBB2_74:                               ;   Parent Loop BB2_29 Depth=1
                                        ; =>  This Inner Loop Header: Depth=2
	global_load_ubyte v6, v7, s[18:19]
	s_add_i32 s21, s21, -1
	s_waitcnt vmcnt(0)
	v_and_b32_e32 v6, 0xffff, v6
	v_lshlrev_b64 v[22:23], s4, v[6:7]
	s_add_u32 s4, s4, 8
	s_addc_u32 s5, s5, 0
	s_add_u32 s18, s18, 1
	s_addc_u32 s19, s19, 0
	s_cmp_lg_u32 s21, 0
	v_or_b32_e32 v20, v22, v20
	v_or_b32_e32 v21, v23, v21
	s_cbranch_scc1 .LBB2_74
.LBB2_75:                               ;   in Loop: Header=BB2_29 Depth=1
	s_cbranch_execz .LBB2_77
	s_branch .LBB2_78
.LBB2_76:                               ;   in Loop: Header=BB2_29 Depth=1
.LBB2_77:                               ;   in Loop: Header=BB2_29 Depth=1
	global_load_dwordx2 v[20:21], v7, s[16:17]
.LBB2_78:                               ;   in Loop: Header=BB2_29 Depth=1
	v_readfirstlane_b32 s4, v29
	v_mov_b32_e32 v26, 0
	v_mov_b32_e32 v27, 0
	v_cmp_eq_u32_e64 s4, s4, v29
	s_and_saveexec_b32 s5, s4
	s_cbranch_execz .LBB2_84
; %bb.79:                               ;   in Loop: Header=BB2_29 Depth=1
	global_load_dwordx2 v[24:25], v7, s[6:7] offset:24 glc dlc
	s_waitcnt vmcnt(0)
	buffer_gl1_inv
	buffer_gl0_inv
	s_clause 0x1
	global_load_dwordx2 v[22:23], v7, s[6:7] offset:40
	global_load_dwordx2 v[26:27], v7, s[6:7]
	s_mov_b32 s16, exec_lo
	s_waitcnt vmcnt(1)
	v_and_b32_e32 v6, v23, v25
	v_and_b32_e32 v22, v22, v24
	v_mul_lo_u32 v6, v6, 24
	v_mul_hi_u32 v23, v22, 24
	v_mul_lo_u32 v22, v22, 24
	v_add_nc_u32_e32 v6, v23, v6
	s_waitcnt vmcnt(0)
	v_add_co_u32 v22, vcc_lo, v26, v22
	v_add_co_ci_u32_e64 v23, null, v27, v6, vcc_lo
	global_load_dwordx2 v[22:23], v[22:23], off glc dlc
	s_waitcnt vmcnt(0)
	global_atomic_cmpswap_x2 v[26:27], v7, v[22:25], s[6:7] offset:24 glc
	s_waitcnt vmcnt(0)
	buffer_gl1_inv
	buffer_gl0_inv
	v_cmpx_ne_u64_e64 v[26:27], v[24:25]
	s_cbranch_execz .LBB2_83
; %bb.80:                               ;   in Loop: Header=BB2_29 Depth=1
	s_mov_b32 s17, 0
	.p2align	6
.LBB2_81:                               ;   Parent Loop BB2_29 Depth=1
                                        ; =>  This Inner Loop Header: Depth=2
	s_sleep 1
	s_clause 0x1
	global_load_dwordx2 v[22:23], v7, s[6:7] offset:40
	global_load_dwordx2 v[31:32], v7, s[6:7]
	v_mov_b32_e32 v24, v26
	v_mov_b32_e32 v25, v27
	s_waitcnt vmcnt(1)
	v_and_b32_e32 v6, v22, v24
	v_and_b32_e32 v22, v23, v25
	s_waitcnt vmcnt(0)
	v_mad_u64_u32 v[26:27], null, v6, 24, v[31:32]
	v_mov_b32_e32 v6, v27
	v_mad_u64_u32 v[22:23], null, v22, 24, v[6:7]
	v_mov_b32_e32 v27, v22
	global_load_dwordx2 v[22:23], v[26:27], off glc dlc
	s_waitcnt vmcnt(0)
	global_atomic_cmpswap_x2 v[26:27], v7, v[22:25], s[6:7] offset:24 glc
	s_waitcnt vmcnt(0)
	buffer_gl1_inv
	buffer_gl0_inv
	v_cmp_eq_u64_e32 vcc_lo, v[26:27], v[24:25]
	s_or_b32 s17, vcc_lo, s17
	s_andn2_b32 exec_lo, exec_lo, s17
	s_cbranch_execnz .LBB2_81
; %bb.82:                               ;   in Loop: Header=BB2_29 Depth=1
	s_or_b32 exec_lo, exec_lo, s17
.LBB2_83:                               ;   in Loop: Header=BB2_29 Depth=1
	s_or_b32 exec_lo, exec_lo, s16
.LBB2_84:                               ;   in Loop: Header=BB2_29 Depth=1
	s_or_b32 exec_lo, exec_lo, s5
	s_clause 0x1
	global_load_dwordx2 v[31:32], v7, s[6:7] offset:40
	global_load_dwordx4 v[22:25], v7, s[6:7]
	v_readfirstlane_b32 s17, v27
	v_readfirstlane_b32 s16, v26
	s_mov_b32 s5, exec_lo
	s_waitcnt vmcnt(1)
	v_readfirstlane_b32 s18, v31
	v_readfirstlane_b32 s19, v32
	s_and_b64 s[18:19], s[18:19], s[16:17]
	s_mul_i32 s20, s19, 24
	s_mul_hi_u32 s21, s18, 24
	s_mul_i32 s22, s18, 24
	s_add_i32 s21, s21, s20
	s_waitcnt vmcnt(0)
	v_add_co_u32 v26, vcc_lo, v22, s22
	v_add_co_ci_u32_e64 v27, null, s21, v23, vcc_lo
	s_and_saveexec_b32 s20, s4
	s_cbranch_execz .LBB2_86
; %bb.85:                               ;   in Loop: Header=BB2_29 Depth=1
	v_mov_b32_e32 v6, s5
	global_store_dwordx4 v[26:27], v[6:9], off offset:8
.LBB2_86:                               ;   in Loop: Header=BB2_29 Depth=1
	s_or_b32 exec_lo, exec_lo, s20
	v_cmp_lt_u64_e64 vcc_lo, s[12:13], 57
	s_lshl_b64 s[18:19], s[18:19], 12
	v_and_b32_e32 v0, 0xffffff1f, v0
	s_lshl_b32 s5, s14, 2
	s_add_i32 s5, s5, 28
	v_cndmask_b32_e32 v6, 0, v30, vcc_lo
	v_add_co_u32 v24, vcc_lo, v24, s18
	v_add_co_ci_u32_e64 v25, null, s19, v25, vcc_lo
	v_or_b32_e32 v0, v0, v6
	v_readfirstlane_b32 s18, v24
	v_readfirstlane_b32 s19, v25
	v_and_or_b32 v0, 0x1e0, s5, v0
	global_store_dwordx4 v28, v[10:13], s[18:19] offset:16
	global_store_dwordx4 v28, v[0:3], s[18:19]
	global_store_dwordx4 v28, v[14:17], s[18:19] offset:32
	global_store_dwordx4 v28, v[18:21], s[18:19] offset:48
	s_and_saveexec_b32 s5, s4
	s_cbranch_execz .LBB2_94
; %bb.87:                               ;   in Loop: Header=BB2_29 Depth=1
	s_clause 0x1
	global_load_dwordx2 v[14:15], v7, s[6:7] offset:32 glc dlc
	global_load_dwordx2 v[0:1], v7, s[6:7] offset:40
	v_mov_b32_e32 v12, s16
	v_mov_b32_e32 v13, s17
	s_waitcnt vmcnt(0)
	v_readfirstlane_b32 s18, v0
	v_readfirstlane_b32 s19, v1
	s_and_b64 s[18:19], s[18:19], s[16:17]
	s_mul_i32 s19, s19, 24
	s_mul_hi_u32 s20, s18, 24
	s_mul_i32 s18, s18, 24
	s_add_i32 s20, s20, s19
	v_add_co_u32 v10, vcc_lo, v22, s18
	v_add_co_ci_u32_e64 v11, null, s20, v23, vcc_lo
	s_mov_b32 s18, exec_lo
	global_store_dwordx2 v[10:11], v[14:15], off
	s_waitcnt_vscnt null, 0x0
	global_atomic_cmpswap_x2 v[2:3], v7, v[12:15], s[6:7] offset:32 glc
	s_waitcnt vmcnt(0)
	v_cmpx_ne_u64_e64 v[2:3], v[14:15]
	s_cbranch_execz .LBB2_90
; %bb.88:                               ;   in Loop: Header=BB2_29 Depth=1
	s_mov_b32 s19, 0
.LBB2_89:                               ;   Parent Loop BB2_29 Depth=1
                                        ; =>  This Inner Loop Header: Depth=2
	v_mov_b32_e32 v0, s16
	v_mov_b32_e32 v1, s17
	s_sleep 1
	global_store_dwordx2 v[10:11], v[2:3], off
	s_waitcnt_vscnt null, 0x0
	global_atomic_cmpswap_x2 v[0:1], v7, v[0:3], s[6:7] offset:32 glc
	s_waitcnt vmcnt(0)
	v_cmp_eq_u64_e32 vcc_lo, v[0:1], v[2:3]
	v_mov_b32_e32 v3, v1
	v_mov_b32_e32 v2, v0
	s_or_b32 s19, vcc_lo, s19
	s_andn2_b32 exec_lo, exec_lo, s19
	s_cbranch_execnz .LBB2_89
.LBB2_90:                               ;   in Loop: Header=BB2_29 Depth=1
	s_or_b32 exec_lo, exec_lo, s18
	global_load_dwordx2 v[0:1], v7, s[6:7] offset:16
	s_mov_b32 s19, exec_lo
	s_mov_b32 s18, exec_lo
	v_mbcnt_lo_u32_b32 v2, s19, 0
	v_cmpx_eq_u32_e32 0, v2
	s_cbranch_execz .LBB2_92
; %bb.91:                               ;   in Loop: Header=BB2_29 Depth=1
	s_bcnt1_i32_b32 s19, s19
	v_mov_b32_e32 v6, s19
	s_waitcnt vmcnt(0)
	global_atomic_add_x2 v[0:1], v[6:7], off offset:8
.LBB2_92:                               ;   in Loop: Header=BB2_29 Depth=1
	s_or_b32 exec_lo, exec_lo, s18
	s_waitcnt vmcnt(0)
	global_load_dwordx2 v[2:3], v[0:1], off offset:16
	s_waitcnt vmcnt(0)
	v_cmp_eq_u64_e32 vcc_lo, 0, v[2:3]
	s_cbranch_vccnz .LBB2_94
; %bb.93:                               ;   in Loop: Header=BB2_29 Depth=1
	global_load_dword v6, v[0:1], off offset:24
	s_waitcnt vmcnt(0)
	v_readfirstlane_b32 s18, v6
	s_waitcnt_vscnt null, 0x0
	global_store_dwordx2 v[2:3], v[6:7], off
	s_and_b32 m0, s18, 0x7fffff
	s_sendmsg sendmsg(MSG_INTERRUPT)
.LBB2_94:                               ;   in Loop: Header=BB2_29 Depth=1
	s_or_b32 exec_lo, exec_lo, s5
	v_add_co_u32 v0, vcc_lo, v24, v28
	v_add_co_ci_u32_e64 v1, null, 0, v25, vcc_lo
	s_branch .LBB2_98
	.p2align	6
.LBB2_95:                               ;   in Loop: Header=BB2_98 Depth=2
	s_or_b32 exec_lo, exec_lo, s5
	v_readfirstlane_b32 s5, v2
	s_cmp_eq_u32 s5, 0
	s_cbranch_scc1 .LBB2_97
; %bb.96:                               ;   in Loop: Header=BB2_98 Depth=2
	s_sleep 1
	s_cbranch_execnz .LBB2_98
	s_branch .LBB2_100
	.p2align	6
.LBB2_97:                               ;   in Loop: Header=BB2_29 Depth=1
	s_branch .LBB2_100
.LBB2_98:                               ;   Parent Loop BB2_29 Depth=1
                                        ; =>  This Inner Loop Header: Depth=2
	v_mov_b32_e32 v2, 1
	s_and_saveexec_b32 s5, s4
	s_cbranch_execz .LBB2_95
; %bb.99:                               ;   in Loop: Header=BB2_98 Depth=2
	global_load_dword v2, v[26:27], off offset:20 glc dlc
	s_waitcnt vmcnt(0)
	buffer_gl1_inv
	buffer_gl0_inv
	v_and_b32_e32 v2, 1, v2
	s_branch .LBB2_95
.LBB2_100:                              ;   in Loop: Header=BB2_29 Depth=1
	global_load_dwordx2 v[0:1], v[0:1], off
	s_and_saveexec_b32 s18, s4
	s_cbranch_execz .LBB2_28
; %bb.101:                              ;   in Loop: Header=BB2_29 Depth=1
	s_clause 0x2
	global_load_dwordx2 v[2:3], v7, s[6:7] offset:40
	global_load_dwordx2 v[14:15], v7, s[6:7] offset:24 glc dlc
	global_load_dwordx2 v[10:11], v7, s[6:7]
	s_waitcnt vmcnt(2)
	v_readfirstlane_b32 s20, v2
	v_readfirstlane_b32 s21, v3
	s_add_u32 s19, s20, 1
	s_addc_u32 s22, s21, 0
	s_add_u32 s4, s19, s16
	s_addc_u32 s5, s22, s17
	s_cmp_eq_u64 s[4:5], 0
	s_cselect_b32 s5, s22, s5
	s_cselect_b32 s4, s19, s4
	v_mov_b32_e32 v13, s5
	s_and_b64 s[16:17], s[4:5], s[20:21]
	v_mov_b32_e32 v12, s4
	s_mul_i32 s17, s17, 24
	s_mul_hi_u32 s19, s16, 24
	s_mul_i32 s16, s16, 24
	s_add_i32 s19, s19, s17
	s_waitcnt vmcnt(0)
	v_add_co_u32 v2, vcc_lo, v10, s16
	v_add_co_ci_u32_e64 v3, null, s19, v11, vcc_lo
	global_store_dwordx2 v[2:3], v[14:15], off
	s_waitcnt_vscnt null, 0x0
	global_atomic_cmpswap_x2 v[12:13], v7, v[12:15], s[6:7] offset:24 glc
	s_waitcnt vmcnt(0)
	v_cmp_ne_u64_e32 vcc_lo, v[12:13], v[14:15]
	s_and_b32 exec_lo, exec_lo, vcc_lo
	s_cbranch_execz .LBB2_28
; %bb.102:                              ;   in Loop: Header=BB2_29 Depth=1
	s_mov_b32 s16, 0
.LBB2_103:                              ;   Parent Loop BB2_29 Depth=1
                                        ; =>  This Inner Loop Header: Depth=2
	v_mov_b32_e32 v10, s4
	v_mov_b32_e32 v11, s5
	s_sleep 1
	global_store_dwordx2 v[2:3], v[12:13], off
	s_waitcnt_vscnt null, 0x0
	global_atomic_cmpswap_x2 v[10:11], v7, v[10:13], s[6:7] offset:24 glc
	s_waitcnt vmcnt(0)
	v_cmp_eq_u64_e32 vcc_lo, v[10:11], v[12:13]
	v_mov_b32_e32 v13, v11
	v_mov_b32_e32 v12, v10
	s_or_b32 s16, vcc_lo, s16
	s_andn2_b32 exec_lo, exec_lo, s16
	s_cbranch_execnz .LBB2_103
	s_branch .LBB2_28
.LBB2_104:
                                        ; implicit-def: $vgpr0_vgpr1
	s_cbranch_execnz .LBB2_106
	s_branch .LBB2_133
.LBB2_105:
	s_branch .LBB2_133
.LBB2_106:
	v_readfirstlane_b32 s4, v29
	v_mov_b32_e32 v7, 0
	v_mov_b32_e32 v8, 0
	v_cmp_eq_u32_e64 s4, s4, v29
	s_and_saveexec_b32 s5, s4
	s_cbranch_execz .LBB2_112
; %bb.107:
	s_waitcnt vmcnt(0)
	v_mov_b32_e32 v0, 0
	s_mov_b32 s10, exec_lo
	global_load_dwordx2 v[9:10], v0, s[6:7] offset:24 glc dlc
	s_waitcnt vmcnt(0)
	buffer_gl1_inv
	buffer_gl0_inv
	s_clause 0x1
	global_load_dwordx2 v[1:2], v0, s[6:7] offset:40
	global_load_dwordx2 v[6:7], v0, s[6:7]
	s_waitcnt vmcnt(1)
	v_and_b32_e32 v2, v2, v10
	v_and_b32_e32 v1, v1, v9
	v_mul_lo_u32 v2, v2, 24
	v_mul_hi_u32 v3, v1, 24
	v_mul_lo_u32 v1, v1, 24
	v_add_nc_u32_e32 v2, v3, v2
	s_waitcnt vmcnt(0)
	v_add_co_u32 v1, vcc_lo, v6, v1
	v_add_co_ci_u32_e64 v2, null, v7, v2, vcc_lo
	global_load_dwordx2 v[7:8], v[1:2], off glc dlc
	s_waitcnt vmcnt(0)
	global_atomic_cmpswap_x2 v[7:8], v0, v[7:10], s[6:7] offset:24 glc
	s_waitcnt vmcnt(0)
	buffer_gl1_inv
	buffer_gl0_inv
	v_cmpx_ne_u64_e64 v[7:8], v[9:10]
	s_cbranch_execz .LBB2_111
; %bb.108:
	s_mov_b32 s11, 0
	.p2align	6
.LBB2_109:                              ; =>This Inner Loop Header: Depth=1
	s_sleep 1
	s_clause 0x1
	global_load_dwordx2 v[1:2], v0, s[6:7] offset:40
	global_load_dwordx2 v[11:12], v0, s[6:7]
	v_mov_b32_e32 v10, v8
	v_mov_b32_e32 v9, v7
	s_waitcnt vmcnt(1)
	v_and_b32_e32 v1, v1, v9
	v_and_b32_e32 v2, v2, v10
	s_waitcnt vmcnt(0)
	v_mad_u64_u32 v[6:7], null, v1, 24, v[11:12]
	v_mov_b32_e32 v1, v7
	v_mad_u64_u32 v[1:2], null, v2, 24, v[1:2]
	v_mov_b32_e32 v7, v1
	global_load_dwordx2 v[7:8], v[6:7], off glc dlc
	s_waitcnt vmcnt(0)
	global_atomic_cmpswap_x2 v[7:8], v0, v[7:10], s[6:7] offset:24 glc
	s_waitcnt vmcnt(0)
	buffer_gl1_inv
	buffer_gl0_inv
	v_cmp_eq_u64_e32 vcc_lo, v[7:8], v[9:10]
	s_or_b32 s11, vcc_lo, s11
	s_andn2_b32 exec_lo, exec_lo, s11
	s_cbranch_execnz .LBB2_109
; %bb.110:
	s_or_b32 exec_lo, exec_lo, s11
.LBB2_111:
	s_or_b32 exec_lo, exec_lo, s10
.LBB2_112:
	s_or_b32 exec_lo, exec_lo, s5
	v_mov_b32_e32 v6, 0
	v_readfirstlane_b32 s11, v8
	v_readfirstlane_b32 s10, v7
	s_mov_b32 s5, exec_lo
	s_clause 0x1
	global_load_dwordx2 v[9:10], v6, s[6:7] offset:40
	global_load_dwordx4 v[0:3], v6, s[6:7]
	s_waitcnt vmcnt(1)
	v_readfirstlane_b32 s12, v9
	v_readfirstlane_b32 s13, v10
	s_and_b64 s[12:13], s[12:13], s[10:11]
	s_mul_i32 s14, s13, 24
	s_mul_hi_u32 s15, s12, 24
	s_mul_i32 s16, s12, 24
	s_add_i32 s15, s15, s14
	s_waitcnt vmcnt(0)
	v_add_co_u32 v8, vcc_lo, v0, s16
	v_add_co_ci_u32_e64 v9, null, s15, v1, vcc_lo
	s_and_saveexec_b32 s14, s4
	s_cbranch_execz .LBB2_114
; %bb.113:
	v_mov_b32_e32 v10, s5
	v_mov_b32_e32 v11, v6
	;; [unrolled: 1-line block ×4, first 2 shown]
	global_store_dwordx4 v[8:9], v[10:13], off offset:8
.LBB2_114:
	s_or_b32 exec_lo, exec_lo, s14
	s_lshl_b64 s[12:13], s[12:13], 12
	v_and_or_b32 v4, 0xffffff1f, v4, 32
	v_add_co_u32 v2, vcc_lo, v2, s12
	v_add_co_ci_u32_e64 v3, null, s13, v3, vcc_lo
	s_mov_b32 s12, 0
	v_add_co_u32 v10, vcc_lo, v2, v28
	s_mov_b32 s13, s12
	s_mov_b32 s14, s12
	;; [unrolled: 1-line block ×3, first 2 shown]
	v_mov_b32_e32 v7, v6
	v_readfirstlane_b32 s16, v2
	v_readfirstlane_b32 s17, v3
	v_mov_b32_e32 v12, s12
	v_add_co_ci_u32_e64 v11, null, 0, v3, vcc_lo
	v_mov_b32_e32 v13, s13
	v_mov_b32_e32 v14, s14
	;; [unrolled: 1-line block ×3, first 2 shown]
	global_store_dwordx4 v28, v[4:7], s[16:17]
	global_store_dwordx4 v28, v[12:15], s[16:17] offset:16
	global_store_dwordx4 v28, v[12:15], s[16:17] offset:32
	;; [unrolled: 1-line block ×3, first 2 shown]
	s_and_saveexec_b32 s5, s4
	s_cbranch_execz .LBB2_122
; %bb.115:
	v_mov_b32_e32 v6, 0
	v_mov_b32_e32 v12, s10
	;; [unrolled: 1-line block ×3, first 2 shown]
	s_clause 0x1
	global_load_dwordx2 v[14:15], v6, s[6:7] offset:32 glc dlc
	global_load_dwordx2 v[2:3], v6, s[6:7] offset:40
	s_waitcnt vmcnt(0)
	v_readfirstlane_b32 s12, v2
	v_readfirstlane_b32 s13, v3
	s_and_b64 s[12:13], s[12:13], s[10:11]
	s_mul_i32 s13, s13, 24
	s_mul_hi_u32 s14, s12, 24
	s_mul_i32 s12, s12, 24
	s_add_i32 s14, s14, s13
	v_add_co_u32 v4, vcc_lo, v0, s12
	v_add_co_ci_u32_e64 v5, null, s14, v1, vcc_lo
	s_mov_b32 s12, exec_lo
	global_store_dwordx2 v[4:5], v[14:15], off
	s_waitcnt_vscnt null, 0x0
	global_atomic_cmpswap_x2 v[2:3], v6, v[12:15], s[6:7] offset:32 glc
	s_waitcnt vmcnt(0)
	v_cmpx_ne_u64_e64 v[2:3], v[14:15]
	s_cbranch_execz .LBB2_118
; %bb.116:
	s_mov_b32 s13, 0
.LBB2_117:                              ; =>This Inner Loop Header: Depth=1
	v_mov_b32_e32 v0, s10
	v_mov_b32_e32 v1, s11
	s_sleep 1
	global_store_dwordx2 v[4:5], v[2:3], off
	s_waitcnt_vscnt null, 0x0
	global_atomic_cmpswap_x2 v[0:1], v6, v[0:3], s[6:7] offset:32 glc
	s_waitcnt vmcnt(0)
	v_cmp_eq_u64_e32 vcc_lo, v[0:1], v[2:3]
	v_mov_b32_e32 v3, v1
	v_mov_b32_e32 v2, v0
	s_or_b32 s13, vcc_lo, s13
	s_andn2_b32 exec_lo, exec_lo, s13
	s_cbranch_execnz .LBB2_117
.LBB2_118:
	s_or_b32 exec_lo, exec_lo, s12
	v_mov_b32_e32 v3, 0
	s_mov_b32 s13, exec_lo
	s_mov_b32 s12, exec_lo
	v_mbcnt_lo_u32_b32 v2, s13, 0
	global_load_dwordx2 v[0:1], v3, s[6:7] offset:16
	v_cmpx_eq_u32_e32 0, v2
	s_cbranch_execz .LBB2_120
; %bb.119:
	s_bcnt1_i32_b32 s13, s13
	v_mov_b32_e32 v2, s13
	s_waitcnt vmcnt(0)
	global_atomic_add_x2 v[0:1], v[2:3], off offset:8
.LBB2_120:
	s_or_b32 exec_lo, exec_lo, s12
	s_waitcnt vmcnt(0)
	global_load_dwordx2 v[2:3], v[0:1], off offset:16
	s_waitcnt vmcnt(0)
	v_cmp_eq_u64_e32 vcc_lo, 0, v[2:3]
	s_cbranch_vccnz .LBB2_122
; %bb.121:
	global_load_dword v0, v[0:1], off offset:24
	v_mov_b32_e32 v1, 0
	s_waitcnt vmcnt(0)
	v_readfirstlane_b32 s12, v0
	s_waitcnt_vscnt null, 0x0
	global_store_dwordx2 v[2:3], v[0:1], off
	s_and_b32 m0, s12, 0x7fffff
	s_sendmsg sendmsg(MSG_INTERRUPT)
.LBB2_122:
	s_or_b32 exec_lo, exec_lo, s5
	s_branch .LBB2_126
	.p2align	6
.LBB2_123:                              ;   in Loop: Header=BB2_126 Depth=1
	s_or_b32 exec_lo, exec_lo, s5
	v_readfirstlane_b32 s5, v0
	s_cmp_eq_u32 s5, 0
	s_cbranch_scc1 .LBB2_125
; %bb.124:                              ;   in Loop: Header=BB2_126 Depth=1
	s_sleep 1
	s_cbranch_execnz .LBB2_126
	s_branch .LBB2_128
	.p2align	6
.LBB2_125:
	s_branch .LBB2_128
.LBB2_126:                              ; =>This Inner Loop Header: Depth=1
	v_mov_b32_e32 v0, 1
	s_and_saveexec_b32 s5, s4
	s_cbranch_execz .LBB2_123
; %bb.127:                              ;   in Loop: Header=BB2_126 Depth=1
	global_load_dword v0, v[8:9], off offset:20 glc dlc
	s_waitcnt vmcnt(0)
	buffer_gl1_inv
	buffer_gl0_inv
	v_and_b32_e32 v0, 1, v0
	s_branch .LBB2_123
.LBB2_128:
	global_load_dwordx2 v[0:1], v[10:11], off
	s_and_saveexec_b32 s12, s4
	s_cbranch_execz .LBB2_132
; %bb.129:
	v_mov_b32_e32 v8, 0
	s_clause 0x2
	global_load_dwordx2 v[2:3], v8, s[6:7] offset:40
	global_load_dwordx2 v[11:12], v8, s[6:7] offset:24 glc dlc
	global_load_dwordx2 v[4:5], v8, s[6:7]
	s_waitcnt vmcnt(2)
	v_readfirstlane_b32 s14, v2
	v_readfirstlane_b32 s15, v3
	s_add_u32 s13, s14, 1
	s_addc_u32 s16, s15, 0
	s_add_u32 s4, s13, s10
	s_addc_u32 s5, s16, s11
	s_cmp_eq_u64 s[4:5], 0
	s_cselect_b32 s5, s16, s5
	s_cselect_b32 s4, s13, s4
	v_mov_b32_e32 v10, s5
	s_and_b64 s[10:11], s[4:5], s[14:15]
	v_mov_b32_e32 v9, s4
	s_mul_i32 s11, s11, 24
	s_mul_hi_u32 s13, s10, 24
	s_mul_i32 s10, s10, 24
	s_add_i32 s13, s13, s11
	s_waitcnt vmcnt(0)
	v_add_co_u32 v6, vcc_lo, v4, s10
	v_add_co_ci_u32_e64 v7, null, s13, v5, vcc_lo
	global_store_dwordx2 v[6:7], v[11:12], off
	s_waitcnt_vscnt null, 0x0
	global_atomic_cmpswap_x2 v[4:5], v8, v[9:12], s[6:7] offset:24 glc
	s_waitcnt vmcnt(0)
	v_cmp_ne_u64_e32 vcc_lo, v[4:5], v[11:12]
	s_and_b32 exec_lo, exec_lo, vcc_lo
	s_cbranch_execz .LBB2_132
; %bb.130:
	s_mov_b32 s10, 0
.LBB2_131:                              ; =>This Inner Loop Header: Depth=1
	v_mov_b32_e32 v2, s4
	v_mov_b32_e32 v3, s5
	s_sleep 1
	global_store_dwordx2 v[6:7], v[4:5], off
	s_waitcnt_vscnt null, 0x0
	global_atomic_cmpswap_x2 v[2:3], v8, v[2:5], s[6:7] offset:24 glc
	s_waitcnt vmcnt(0)
	v_cmp_eq_u64_e32 vcc_lo, v[2:3], v[4:5]
	v_mov_b32_e32 v5, v3
	v_mov_b32_e32 v4, v2
	s_or_b32 s10, vcc_lo, s10
	s_andn2_b32 exec_lo, exec_lo, s10
	s_cbranch_execnz .LBB2_131
.LBB2_132:
	s_or_b32 exec_lo, exec_lo, s12
.LBB2_133:
	s_getpc_b64 s[4:5]
	s_add_u32 s4, s4, .str@rel32@lo+4
	s_addc_u32 s5, s5, .str@rel32@hi+12
	s_mov_b64 s[10:11], 0
	s_cmp_lg_u64 s[4:5], 0
	s_cselect_b32 s12, -1, 0
	s_cmp_eq_u64 s[4:5], 0
	s_cbranch_scc1 .LBB2_137
; %bb.134:
	v_mov_b32_e32 v2, 0
	s_getpc_b64 s[4:5]
	s_add_u32 s4, s4, .str@rel32@lo+3
	s_addc_u32 s5, s5, .str@rel32@hi+11
.LBB2_135:                              ; =>This Inner Loop Header: Depth=1
	global_load_ubyte v3, v2, s[4:5] offset:1
	s_add_u32 s10, s4, 1
	s_addc_u32 s11, s5, 0
	s_mov_b64 s[4:5], s[10:11]
	s_waitcnt vmcnt(0)
	v_cmp_ne_u32_e32 vcc_lo, 0, v3
	s_cbranch_vccnz .LBB2_135
; %bb.136:
	s_getpc_b64 s[4:5]
	s_add_u32 s4, s4, .str@rel32@lo+4
	s_addc_u32 s5, s5, .str@rel32@hi+12
	s_sub_u32 s4, s10, s4
	s_subb_u32 s5, s11, s5
	s_add_u32 s10, s4, 1
	s_addc_u32 s11, s5, 0
.LBB2_137:
	s_and_b32 vcc_lo, exec_lo, s12
	s_cbranch_vccz .LBB2_215
; %bb.138:
	s_waitcnt vmcnt(0)
	v_and_b32_e32 v30, 2, v0
	v_mov_b32_e32 v7, 0
	v_and_b32_e32 v2, -3, v0
	v_mov_b32_e32 v3, v1
	v_mov_b32_e32 v8, 2
	;; [unrolled: 1-line block ×3, first 2 shown]
	s_getpc_b64 s[12:13]
	s_add_u32 s12, s12, .str@rel32@lo+4
	s_addc_u32 s13, s13, .str@rel32@hi+12
	s_branch .LBB2_140
.LBB2_139:                              ;   in Loop: Header=BB2_140 Depth=1
	s_or_b32 exec_lo, exec_lo, s18
	s_sub_u32 s10, s10, s14
	s_subb_u32 s11, s11, s15
	s_add_u32 s12, s12, s14
	s_addc_u32 s13, s13, s15
	s_cmp_lg_u64 s[10:11], 0
	s_cbranch_scc0 .LBB2_216
.LBB2_140:                              ; =>This Loop Header: Depth=1
                                        ;     Child Loop BB2_143 Depth 2
                                        ;     Child Loop BB2_150 Depth 2
	;; [unrolled: 1-line block ×11, first 2 shown]
	v_cmp_lt_u64_e64 s4, s[10:11], 56
	v_cmp_gt_u64_e64 s16, s[10:11], 7
	s_and_b32 s4, s4, exec_lo
	s_cselect_b32 s15, s11, 0
	s_cselect_b32 s14, s10, 56
	s_add_u32 s4, s12, 8
	s_addc_u32 s5, s13, 0
	s_and_b32 vcc_lo, exec_lo, s16
	s_cbranch_vccnz .LBB2_145
; %bb.141:                              ;   in Loop: Header=BB2_140 Depth=1
	v_mov_b32_e32 v4, 0
	v_mov_b32_e32 v5, 0
	s_cmp_eq_u64 s[10:11], 0
	s_cbranch_scc1 .LBB2_144
; %bb.142:                              ;   in Loop: Header=BB2_140 Depth=1
	s_lshl_b64 s[4:5], s[14:15], 3
	s_mov_b64 s[16:17], 0
	s_mov_b64 s[18:19], s[12:13]
.LBB2_143:                              ;   Parent Loop BB2_140 Depth=1
                                        ; =>  This Inner Loop Header: Depth=2
	global_load_ubyte v6, v7, s[18:19]
	s_waitcnt vmcnt(0)
	v_and_b32_e32 v6, 0xffff, v6
	v_lshlrev_b64 v[10:11], s16, v[6:7]
	s_add_u32 s16, s16, 8
	s_addc_u32 s17, s17, 0
	s_add_u32 s18, s18, 1
	s_addc_u32 s19, s19, 0
	s_cmp_lg_u32 s4, s16
	v_or_b32_e32 v4, v10, v4
	v_or_b32_e32 v5, v11, v5
	s_cbranch_scc1 .LBB2_143
.LBB2_144:                              ;   in Loop: Header=BB2_140 Depth=1
	s_mov_b64 s[4:5], s[12:13]
	s_mov_b32 s20, 0
	s_cbranch_execz .LBB2_146
	s_branch .LBB2_147
.LBB2_145:                              ;   in Loop: Header=BB2_140 Depth=1
	s_mov_b32 s20, 0
.LBB2_146:                              ;   in Loop: Header=BB2_140 Depth=1
	global_load_dwordx2 v[4:5], v7, s[12:13]
	s_add_i32 s20, s14, -8
.LBB2_147:                              ;   in Loop: Header=BB2_140 Depth=1
	s_add_u32 s16, s4, 8
	s_addc_u32 s17, s5, 0
	s_cmp_gt_u32 s20, 7
	s_cbranch_scc1 .LBB2_152
; %bb.148:                              ;   in Loop: Header=BB2_140 Depth=1
	v_mov_b32_e32 v10, 0
	v_mov_b32_e32 v11, 0
	s_cmp_eq_u32 s20, 0
	s_cbranch_scc1 .LBB2_151
; %bb.149:                              ;   in Loop: Header=BB2_140 Depth=1
	s_mov_b64 s[16:17], 0
	s_mov_b64 s[18:19], 0
.LBB2_150:                              ;   Parent Loop BB2_140 Depth=1
                                        ; =>  This Inner Loop Header: Depth=2
	s_add_u32 s22, s4, s18
	s_addc_u32 s23, s5, s19
	s_add_u32 s18, s18, 1
	global_load_ubyte v6, v7, s[22:23]
	s_addc_u32 s19, s19, 0
	s_waitcnt vmcnt(0)
	v_and_b32_e32 v6, 0xffff, v6
	v_lshlrev_b64 v[12:13], s16, v[6:7]
	s_add_u32 s16, s16, 8
	s_addc_u32 s17, s17, 0
	s_cmp_lg_u32 s20, s18
	v_or_b32_e32 v10, v12, v10
	v_or_b32_e32 v11, v13, v11
	s_cbranch_scc1 .LBB2_150
.LBB2_151:                              ;   in Loop: Header=BB2_140 Depth=1
	s_mov_b64 s[16:17], s[4:5]
	s_mov_b32 s21, 0
	s_cbranch_execz .LBB2_153
	s_branch .LBB2_154
.LBB2_152:                              ;   in Loop: Header=BB2_140 Depth=1
                                        ; implicit-def: $vgpr10_vgpr11
	s_mov_b32 s21, 0
.LBB2_153:                              ;   in Loop: Header=BB2_140 Depth=1
	global_load_dwordx2 v[10:11], v7, s[4:5]
	s_add_i32 s21, s20, -8
.LBB2_154:                              ;   in Loop: Header=BB2_140 Depth=1
	s_add_u32 s4, s16, 8
	s_addc_u32 s5, s17, 0
	s_cmp_gt_u32 s21, 7
	s_cbranch_scc1 .LBB2_159
; %bb.155:                              ;   in Loop: Header=BB2_140 Depth=1
	v_mov_b32_e32 v12, 0
	v_mov_b32_e32 v13, 0
	s_cmp_eq_u32 s21, 0
	s_cbranch_scc1 .LBB2_158
; %bb.156:                              ;   in Loop: Header=BB2_140 Depth=1
	s_mov_b64 s[4:5], 0
	s_mov_b64 s[18:19], 0
.LBB2_157:                              ;   Parent Loop BB2_140 Depth=1
                                        ; =>  This Inner Loop Header: Depth=2
	s_add_u32 s22, s16, s18
	s_addc_u32 s23, s17, s19
	s_add_u32 s18, s18, 1
	global_load_ubyte v6, v7, s[22:23]
	s_addc_u32 s19, s19, 0
	s_waitcnt vmcnt(0)
	v_and_b32_e32 v6, 0xffff, v6
	v_lshlrev_b64 v[14:15], s4, v[6:7]
	s_add_u32 s4, s4, 8
	s_addc_u32 s5, s5, 0
	s_cmp_lg_u32 s21, s18
	v_or_b32_e32 v12, v14, v12
	v_or_b32_e32 v13, v15, v13
	s_cbranch_scc1 .LBB2_157
.LBB2_158:                              ;   in Loop: Header=BB2_140 Depth=1
	s_mov_b64 s[4:5], s[16:17]
	s_mov_b32 s20, 0
	s_cbranch_execz .LBB2_160
	s_branch .LBB2_161
.LBB2_159:                              ;   in Loop: Header=BB2_140 Depth=1
	s_mov_b32 s20, 0
.LBB2_160:                              ;   in Loop: Header=BB2_140 Depth=1
	global_load_dwordx2 v[12:13], v7, s[16:17]
	s_add_i32 s20, s21, -8
.LBB2_161:                              ;   in Loop: Header=BB2_140 Depth=1
	s_add_u32 s16, s4, 8
	s_addc_u32 s17, s5, 0
	s_cmp_gt_u32 s20, 7
	s_cbranch_scc1 .LBB2_166
; %bb.162:                              ;   in Loop: Header=BB2_140 Depth=1
	v_mov_b32_e32 v14, 0
	v_mov_b32_e32 v15, 0
	s_cmp_eq_u32 s20, 0
	s_cbranch_scc1 .LBB2_165
; %bb.163:                              ;   in Loop: Header=BB2_140 Depth=1
	s_mov_b64 s[16:17], 0
	s_mov_b64 s[18:19], 0
.LBB2_164:                              ;   Parent Loop BB2_140 Depth=1
                                        ; =>  This Inner Loop Header: Depth=2
	s_add_u32 s22, s4, s18
	s_addc_u32 s23, s5, s19
	s_add_u32 s18, s18, 1
	global_load_ubyte v6, v7, s[22:23]
	s_addc_u32 s19, s19, 0
	s_waitcnt vmcnt(0)
	v_and_b32_e32 v6, 0xffff, v6
	v_lshlrev_b64 v[16:17], s16, v[6:7]
	s_add_u32 s16, s16, 8
	s_addc_u32 s17, s17, 0
	s_cmp_lg_u32 s20, s18
	v_or_b32_e32 v14, v16, v14
	v_or_b32_e32 v15, v17, v15
	s_cbranch_scc1 .LBB2_164
.LBB2_165:                              ;   in Loop: Header=BB2_140 Depth=1
	s_mov_b64 s[16:17], s[4:5]
	s_mov_b32 s21, 0
	s_cbranch_execz .LBB2_167
	s_branch .LBB2_168
.LBB2_166:                              ;   in Loop: Header=BB2_140 Depth=1
                                        ; implicit-def: $vgpr14_vgpr15
	s_mov_b32 s21, 0
.LBB2_167:                              ;   in Loop: Header=BB2_140 Depth=1
	global_load_dwordx2 v[14:15], v7, s[4:5]
	s_add_i32 s21, s20, -8
.LBB2_168:                              ;   in Loop: Header=BB2_140 Depth=1
	s_add_u32 s4, s16, 8
	s_addc_u32 s5, s17, 0
	s_cmp_gt_u32 s21, 7
	s_cbranch_scc1 .LBB2_173
; %bb.169:                              ;   in Loop: Header=BB2_140 Depth=1
	v_mov_b32_e32 v16, 0
	v_mov_b32_e32 v17, 0
	s_cmp_eq_u32 s21, 0
	s_cbranch_scc1 .LBB2_172
; %bb.170:                              ;   in Loop: Header=BB2_140 Depth=1
	s_mov_b64 s[4:5], 0
	s_mov_b64 s[18:19], 0
.LBB2_171:                              ;   Parent Loop BB2_140 Depth=1
                                        ; =>  This Inner Loop Header: Depth=2
	s_add_u32 s22, s16, s18
	s_addc_u32 s23, s17, s19
	s_add_u32 s18, s18, 1
	global_load_ubyte v6, v7, s[22:23]
	s_addc_u32 s19, s19, 0
	s_waitcnt vmcnt(0)
	v_and_b32_e32 v6, 0xffff, v6
	v_lshlrev_b64 v[18:19], s4, v[6:7]
	s_add_u32 s4, s4, 8
	s_addc_u32 s5, s5, 0
	s_cmp_lg_u32 s21, s18
	v_or_b32_e32 v16, v18, v16
	v_or_b32_e32 v17, v19, v17
	s_cbranch_scc1 .LBB2_171
.LBB2_172:                              ;   in Loop: Header=BB2_140 Depth=1
	s_mov_b64 s[4:5], s[16:17]
	s_mov_b32 s20, 0
	s_cbranch_execz .LBB2_174
	s_branch .LBB2_175
.LBB2_173:                              ;   in Loop: Header=BB2_140 Depth=1
	s_mov_b32 s20, 0
.LBB2_174:                              ;   in Loop: Header=BB2_140 Depth=1
	global_load_dwordx2 v[16:17], v7, s[16:17]
	s_add_i32 s20, s21, -8
.LBB2_175:                              ;   in Loop: Header=BB2_140 Depth=1
	s_add_u32 s16, s4, 8
	s_addc_u32 s17, s5, 0
	s_cmp_gt_u32 s20, 7
	s_cbranch_scc1 .LBB2_180
; %bb.176:                              ;   in Loop: Header=BB2_140 Depth=1
	v_mov_b32_e32 v18, 0
	v_mov_b32_e32 v19, 0
	s_cmp_eq_u32 s20, 0
	s_cbranch_scc1 .LBB2_179
; %bb.177:                              ;   in Loop: Header=BB2_140 Depth=1
	s_mov_b64 s[16:17], 0
	s_mov_b64 s[18:19], 0
.LBB2_178:                              ;   Parent Loop BB2_140 Depth=1
                                        ; =>  This Inner Loop Header: Depth=2
	s_add_u32 s22, s4, s18
	s_addc_u32 s23, s5, s19
	s_add_u32 s18, s18, 1
	global_load_ubyte v6, v7, s[22:23]
	s_addc_u32 s19, s19, 0
	s_waitcnt vmcnt(0)
	v_and_b32_e32 v6, 0xffff, v6
	v_lshlrev_b64 v[20:21], s16, v[6:7]
	s_add_u32 s16, s16, 8
	s_addc_u32 s17, s17, 0
	s_cmp_lg_u32 s20, s18
	v_or_b32_e32 v18, v20, v18
	v_or_b32_e32 v19, v21, v19
	s_cbranch_scc1 .LBB2_178
.LBB2_179:                              ;   in Loop: Header=BB2_140 Depth=1
	s_mov_b64 s[16:17], s[4:5]
	s_mov_b32 s21, 0
	s_cbranch_execz .LBB2_181
	s_branch .LBB2_182
.LBB2_180:                              ;   in Loop: Header=BB2_140 Depth=1
                                        ; implicit-def: $vgpr18_vgpr19
	s_mov_b32 s21, 0
.LBB2_181:                              ;   in Loop: Header=BB2_140 Depth=1
	global_load_dwordx2 v[18:19], v7, s[4:5]
	s_add_i32 s21, s20, -8
.LBB2_182:                              ;   in Loop: Header=BB2_140 Depth=1
	s_cmp_gt_u32 s21, 7
	s_cbranch_scc1 .LBB2_187
; %bb.183:                              ;   in Loop: Header=BB2_140 Depth=1
	v_mov_b32_e32 v20, 0
	v_mov_b32_e32 v21, 0
	s_cmp_eq_u32 s21, 0
	s_cbranch_scc1 .LBB2_186
; %bb.184:                              ;   in Loop: Header=BB2_140 Depth=1
	s_mov_b64 s[4:5], 0
	s_mov_b64 s[18:19], s[16:17]
.LBB2_185:                              ;   Parent Loop BB2_140 Depth=1
                                        ; =>  This Inner Loop Header: Depth=2
	global_load_ubyte v6, v7, s[18:19]
	s_add_i32 s21, s21, -1
	s_waitcnt vmcnt(0)
	v_and_b32_e32 v6, 0xffff, v6
	v_lshlrev_b64 v[22:23], s4, v[6:7]
	s_add_u32 s4, s4, 8
	s_addc_u32 s5, s5, 0
	s_add_u32 s18, s18, 1
	s_addc_u32 s19, s19, 0
	s_cmp_lg_u32 s21, 0
	v_or_b32_e32 v20, v22, v20
	v_or_b32_e32 v21, v23, v21
	s_cbranch_scc1 .LBB2_185
.LBB2_186:                              ;   in Loop: Header=BB2_140 Depth=1
	s_cbranch_execz .LBB2_188
	s_branch .LBB2_189
.LBB2_187:                              ;   in Loop: Header=BB2_140 Depth=1
.LBB2_188:                              ;   in Loop: Header=BB2_140 Depth=1
	global_load_dwordx2 v[20:21], v7, s[16:17]
.LBB2_189:                              ;   in Loop: Header=BB2_140 Depth=1
	v_readfirstlane_b32 s4, v29
	v_mov_b32_e32 v26, 0
	v_mov_b32_e32 v27, 0
	v_cmp_eq_u32_e64 s4, s4, v29
	s_and_saveexec_b32 s5, s4
	s_cbranch_execz .LBB2_195
; %bb.190:                              ;   in Loop: Header=BB2_140 Depth=1
	global_load_dwordx2 v[24:25], v7, s[6:7] offset:24 glc dlc
	s_waitcnt vmcnt(0)
	buffer_gl1_inv
	buffer_gl0_inv
	s_clause 0x1
	global_load_dwordx2 v[22:23], v7, s[6:7] offset:40
	global_load_dwordx2 v[26:27], v7, s[6:7]
	s_mov_b32 s16, exec_lo
	s_waitcnt vmcnt(1)
	v_and_b32_e32 v6, v23, v25
	v_and_b32_e32 v22, v22, v24
	v_mul_lo_u32 v6, v6, 24
	v_mul_hi_u32 v23, v22, 24
	v_mul_lo_u32 v22, v22, 24
	v_add_nc_u32_e32 v6, v23, v6
	s_waitcnt vmcnt(0)
	v_add_co_u32 v22, vcc_lo, v26, v22
	v_add_co_ci_u32_e64 v23, null, v27, v6, vcc_lo
	global_load_dwordx2 v[22:23], v[22:23], off glc dlc
	s_waitcnt vmcnt(0)
	global_atomic_cmpswap_x2 v[26:27], v7, v[22:25], s[6:7] offset:24 glc
	s_waitcnt vmcnt(0)
	buffer_gl1_inv
	buffer_gl0_inv
	v_cmpx_ne_u64_e64 v[26:27], v[24:25]
	s_cbranch_execz .LBB2_194
; %bb.191:                              ;   in Loop: Header=BB2_140 Depth=1
	s_mov_b32 s17, 0
	.p2align	6
.LBB2_192:                              ;   Parent Loop BB2_140 Depth=1
                                        ; =>  This Inner Loop Header: Depth=2
	s_sleep 1
	s_clause 0x1
	global_load_dwordx2 v[22:23], v7, s[6:7] offset:40
	global_load_dwordx2 v[31:32], v7, s[6:7]
	v_mov_b32_e32 v24, v26
	v_mov_b32_e32 v25, v27
	s_waitcnt vmcnt(1)
	v_and_b32_e32 v6, v22, v24
	v_and_b32_e32 v22, v23, v25
	s_waitcnt vmcnt(0)
	v_mad_u64_u32 v[26:27], null, v6, 24, v[31:32]
	v_mov_b32_e32 v6, v27
	v_mad_u64_u32 v[22:23], null, v22, 24, v[6:7]
	v_mov_b32_e32 v27, v22
	global_load_dwordx2 v[22:23], v[26:27], off glc dlc
	s_waitcnt vmcnt(0)
	global_atomic_cmpswap_x2 v[26:27], v7, v[22:25], s[6:7] offset:24 glc
	s_waitcnt vmcnt(0)
	buffer_gl1_inv
	buffer_gl0_inv
	v_cmp_eq_u64_e32 vcc_lo, v[26:27], v[24:25]
	s_or_b32 s17, vcc_lo, s17
	s_andn2_b32 exec_lo, exec_lo, s17
	s_cbranch_execnz .LBB2_192
; %bb.193:                              ;   in Loop: Header=BB2_140 Depth=1
	s_or_b32 exec_lo, exec_lo, s17
.LBB2_194:                              ;   in Loop: Header=BB2_140 Depth=1
	s_or_b32 exec_lo, exec_lo, s16
.LBB2_195:                              ;   in Loop: Header=BB2_140 Depth=1
	s_or_b32 exec_lo, exec_lo, s5
	s_clause 0x1
	global_load_dwordx2 v[31:32], v7, s[6:7] offset:40
	global_load_dwordx4 v[22:25], v7, s[6:7]
	v_readfirstlane_b32 s17, v27
	v_readfirstlane_b32 s16, v26
	s_mov_b32 s5, exec_lo
	s_waitcnt vmcnt(1)
	v_readfirstlane_b32 s18, v31
	v_readfirstlane_b32 s19, v32
	s_and_b64 s[18:19], s[18:19], s[16:17]
	s_mul_i32 s20, s19, 24
	s_mul_hi_u32 s21, s18, 24
	s_mul_i32 s22, s18, 24
	s_add_i32 s21, s21, s20
	s_waitcnt vmcnt(0)
	v_add_co_u32 v26, vcc_lo, v22, s22
	v_add_co_ci_u32_e64 v27, null, s21, v23, vcc_lo
	s_and_saveexec_b32 s20, s4
	s_cbranch_execz .LBB2_197
; %bb.196:                              ;   in Loop: Header=BB2_140 Depth=1
	v_mov_b32_e32 v6, s5
	global_store_dwordx4 v[26:27], v[6:9], off offset:8
.LBB2_197:                              ;   in Loop: Header=BB2_140 Depth=1
	s_or_b32 exec_lo, exec_lo, s20
	v_cmp_lt_u64_e64 vcc_lo, s[10:11], 57
	s_lshl_b64 s[18:19], s[18:19], 12
	v_and_b32_e32 v2, 0xffffff1f, v2
	s_lshl_b32 s5, s14, 2
	s_add_i32 s5, s5, 28
	v_cndmask_b32_e32 v6, 0, v30, vcc_lo
	v_add_co_u32 v24, vcc_lo, v24, s18
	v_add_co_ci_u32_e64 v25, null, s19, v25, vcc_lo
	v_or_b32_e32 v2, v2, v6
	v_readfirstlane_b32 s18, v24
	v_readfirstlane_b32 s19, v25
	v_and_or_b32 v2, 0x1e0, s5, v2
	global_store_dwordx4 v28, v[10:13], s[18:19] offset:16
	global_store_dwordx4 v28, v[2:5], s[18:19]
	global_store_dwordx4 v28, v[14:17], s[18:19] offset:32
	global_store_dwordx4 v28, v[18:21], s[18:19] offset:48
	s_and_saveexec_b32 s5, s4
	s_cbranch_execz .LBB2_205
; %bb.198:                              ;   in Loop: Header=BB2_140 Depth=1
	s_clause 0x1
	global_load_dwordx2 v[14:15], v7, s[6:7] offset:32 glc dlc
	global_load_dwordx2 v[2:3], v7, s[6:7] offset:40
	v_mov_b32_e32 v12, s16
	v_mov_b32_e32 v13, s17
	s_waitcnt vmcnt(0)
	v_readfirstlane_b32 s18, v2
	v_readfirstlane_b32 s19, v3
	s_and_b64 s[18:19], s[18:19], s[16:17]
	s_mul_i32 s19, s19, 24
	s_mul_hi_u32 s20, s18, 24
	s_mul_i32 s18, s18, 24
	s_add_i32 s20, s20, s19
	v_add_co_u32 v10, vcc_lo, v22, s18
	v_add_co_ci_u32_e64 v11, null, s20, v23, vcc_lo
	s_mov_b32 s18, exec_lo
	global_store_dwordx2 v[10:11], v[14:15], off
	s_waitcnt_vscnt null, 0x0
	global_atomic_cmpswap_x2 v[4:5], v7, v[12:15], s[6:7] offset:32 glc
	s_waitcnt vmcnt(0)
	v_cmpx_ne_u64_e64 v[4:5], v[14:15]
	s_cbranch_execz .LBB2_201
; %bb.199:                              ;   in Loop: Header=BB2_140 Depth=1
	s_mov_b32 s19, 0
.LBB2_200:                              ;   Parent Loop BB2_140 Depth=1
                                        ; =>  This Inner Loop Header: Depth=2
	v_mov_b32_e32 v2, s16
	v_mov_b32_e32 v3, s17
	s_sleep 1
	global_store_dwordx2 v[10:11], v[4:5], off
	s_waitcnt_vscnt null, 0x0
	global_atomic_cmpswap_x2 v[2:3], v7, v[2:5], s[6:7] offset:32 glc
	s_waitcnt vmcnt(0)
	v_cmp_eq_u64_e32 vcc_lo, v[2:3], v[4:5]
	v_mov_b32_e32 v5, v3
	v_mov_b32_e32 v4, v2
	s_or_b32 s19, vcc_lo, s19
	s_andn2_b32 exec_lo, exec_lo, s19
	s_cbranch_execnz .LBB2_200
.LBB2_201:                              ;   in Loop: Header=BB2_140 Depth=1
	s_or_b32 exec_lo, exec_lo, s18
	global_load_dwordx2 v[2:3], v7, s[6:7] offset:16
	s_mov_b32 s19, exec_lo
	s_mov_b32 s18, exec_lo
	v_mbcnt_lo_u32_b32 v4, s19, 0
	v_cmpx_eq_u32_e32 0, v4
	s_cbranch_execz .LBB2_203
; %bb.202:                              ;   in Loop: Header=BB2_140 Depth=1
	s_bcnt1_i32_b32 s19, s19
	v_mov_b32_e32 v6, s19
	s_waitcnt vmcnt(0)
	global_atomic_add_x2 v[2:3], v[6:7], off offset:8
.LBB2_203:                              ;   in Loop: Header=BB2_140 Depth=1
	s_or_b32 exec_lo, exec_lo, s18
	s_waitcnt vmcnt(0)
	global_load_dwordx2 v[4:5], v[2:3], off offset:16
	s_waitcnt vmcnt(0)
	v_cmp_eq_u64_e32 vcc_lo, 0, v[4:5]
	s_cbranch_vccnz .LBB2_205
; %bb.204:                              ;   in Loop: Header=BB2_140 Depth=1
	global_load_dword v6, v[2:3], off offset:24
	s_waitcnt vmcnt(0)
	v_readfirstlane_b32 s18, v6
	s_waitcnt_vscnt null, 0x0
	global_store_dwordx2 v[4:5], v[6:7], off
	s_and_b32 m0, s18, 0x7fffff
	s_sendmsg sendmsg(MSG_INTERRUPT)
.LBB2_205:                              ;   in Loop: Header=BB2_140 Depth=1
	s_or_b32 exec_lo, exec_lo, s5
	v_add_co_u32 v2, vcc_lo, v24, v28
	v_add_co_ci_u32_e64 v3, null, 0, v25, vcc_lo
	s_branch .LBB2_209
	.p2align	6
.LBB2_206:                              ;   in Loop: Header=BB2_209 Depth=2
	s_or_b32 exec_lo, exec_lo, s5
	v_readfirstlane_b32 s5, v4
	s_cmp_eq_u32 s5, 0
	s_cbranch_scc1 .LBB2_208
; %bb.207:                              ;   in Loop: Header=BB2_209 Depth=2
	s_sleep 1
	s_cbranch_execnz .LBB2_209
	s_branch .LBB2_211
	.p2align	6
.LBB2_208:                              ;   in Loop: Header=BB2_140 Depth=1
	s_branch .LBB2_211
.LBB2_209:                              ;   Parent Loop BB2_140 Depth=1
                                        ; =>  This Inner Loop Header: Depth=2
	v_mov_b32_e32 v4, 1
	s_and_saveexec_b32 s5, s4
	s_cbranch_execz .LBB2_206
; %bb.210:                              ;   in Loop: Header=BB2_209 Depth=2
	global_load_dword v4, v[26:27], off offset:20 glc dlc
	s_waitcnt vmcnt(0)
	buffer_gl1_inv
	buffer_gl0_inv
	v_and_b32_e32 v4, 1, v4
	s_branch .LBB2_206
.LBB2_211:                              ;   in Loop: Header=BB2_140 Depth=1
	global_load_dwordx2 v[2:3], v[2:3], off
	s_and_saveexec_b32 s18, s4
	s_cbranch_execz .LBB2_139
; %bb.212:                              ;   in Loop: Header=BB2_140 Depth=1
	s_clause 0x2
	global_load_dwordx2 v[4:5], v7, s[6:7] offset:40
	global_load_dwordx2 v[14:15], v7, s[6:7] offset:24 glc dlc
	global_load_dwordx2 v[10:11], v7, s[6:7]
	s_waitcnt vmcnt(2)
	v_readfirstlane_b32 s20, v4
	v_readfirstlane_b32 s21, v5
	s_add_u32 s19, s20, 1
	s_addc_u32 s22, s21, 0
	s_add_u32 s4, s19, s16
	s_addc_u32 s5, s22, s17
	s_cmp_eq_u64 s[4:5], 0
	s_cselect_b32 s5, s22, s5
	s_cselect_b32 s4, s19, s4
	v_mov_b32_e32 v13, s5
	s_and_b64 s[16:17], s[4:5], s[20:21]
	v_mov_b32_e32 v12, s4
	s_mul_i32 s17, s17, 24
	s_mul_hi_u32 s19, s16, 24
	s_mul_i32 s16, s16, 24
	s_add_i32 s19, s19, s17
	s_waitcnt vmcnt(0)
	v_add_co_u32 v4, vcc_lo, v10, s16
	v_add_co_ci_u32_e64 v5, null, s19, v11, vcc_lo
	global_store_dwordx2 v[4:5], v[14:15], off
	s_waitcnt_vscnt null, 0x0
	global_atomic_cmpswap_x2 v[12:13], v7, v[12:15], s[6:7] offset:24 glc
	s_waitcnt vmcnt(0)
	v_cmp_ne_u64_e32 vcc_lo, v[12:13], v[14:15]
	s_and_b32 exec_lo, exec_lo, vcc_lo
	s_cbranch_execz .LBB2_139
; %bb.213:                              ;   in Loop: Header=BB2_140 Depth=1
	s_mov_b32 s16, 0
.LBB2_214:                              ;   Parent Loop BB2_140 Depth=1
                                        ; =>  This Inner Loop Header: Depth=2
	v_mov_b32_e32 v10, s4
	v_mov_b32_e32 v11, s5
	s_sleep 1
	global_store_dwordx2 v[4:5], v[12:13], off
	s_waitcnt_vscnt null, 0x0
	global_atomic_cmpswap_x2 v[10:11], v7, v[10:13], s[6:7] offset:24 glc
	s_waitcnt vmcnt(0)
	v_cmp_eq_u64_e32 vcc_lo, v[10:11], v[12:13]
	v_mov_b32_e32 v13, v11
	v_mov_b32_e32 v12, v10
	s_or_b32 s16, vcc_lo, s16
	s_andn2_b32 exec_lo, exec_lo, s16
	s_cbranch_execnz .LBB2_214
	s_branch .LBB2_139
.LBB2_215:
                                        ; implicit-def: $vgpr2_vgpr3
	s_cbranch_execnz .LBB2_217
	s_branch .LBB2_244
.LBB2_216:
	s_branch .LBB2_244
.LBB2_217:
	v_readfirstlane_b32 s4, v29
	v_mov_b32_e32 v8, 0
	v_mov_b32_e32 v9, 0
	v_cmp_eq_u32_e64 s4, s4, v29
	s_and_saveexec_b32 s5, s4
	s_cbranch_execz .LBB2_223
; %bb.218:
	s_waitcnt vmcnt(0)
	v_mov_b32_e32 v2, 0
	s_mov_b32 s10, exec_lo
	global_load_dwordx2 v[5:6], v2, s[6:7] offset:24 glc dlc
	s_waitcnt vmcnt(0)
	buffer_gl1_inv
	buffer_gl0_inv
	s_clause 0x1
	global_load_dwordx2 v[3:4], v2, s[6:7] offset:40
	global_load_dwordx2 v[7:8], v2, s[6:7]
	s_waitcnt vmcnt(1)
	v_and_b32_e32 v4, v4, v6
	v_and_b32_e32 v3, v3, v5
	v_mul_lo_u32 v4, v4, 24
	v_mul_hi_u32 v9, v3, 24
	v_mul_lo_u32 v3, v3, 24
	v_add_nc_u32_e32 v4, v9, v4
	s_waitcnt vmcnt(0)
	v_add_co_u32 v3, vcc_lo, v7, v3
	v_add_co_ci_u32_e64 v4, null, v8, v4, vcc_lo
	global_load_dwordx2 v[3:4], v[3:4], off glc dlc
	s_waitcnt vmcnt(0)
	global_atomic_cmpswap_x2 v[8:9], v2, v[3:6], s[6:7] offset:24 glc
	s_waitcnt vmcnt(0)
	buffer_gl1_inv
	buffer_gl0_inv
	v_cmpx_ne_u64_e64 v[8:9], v[5:6]
	s_cbranch_execz .LBB2_222
; %bb.219:
	s_mov_b32 s11, 0
	.p2align	6
.LBB2_220:                              ; =>This Inner Loop Header: Depth=1
	s_sleep 1
	s_clause 0x1
	global_load_dwordx2 v[3:4], v2, s[6:7] offset:40
	global_load_dwordx2 v[10:11], v2, s[6:7]
	v_mov_b32_e32 v5, v8
	v_mov_b32_e32 v6, v9
	s_waitcnt vmcnt(1)
	v_and_b32_e32 v3, v3, v5
	v_and_b32_e32 v4, v4, v6
	s_waitcnt vmcnt(0)
	v_mad_u64_u32 v[7:8], null, v3, 24, v[10:11]
	v_mov_b32_e32 v3, v8
	v_mad_u64_u32 v[3:4], null, v4, 24, v[3:4]
	v_mov_b32_e32 v8, v3
	global_load_dwordx2 v[3:4], v[7:8], off glc dlc
	s_waitcnt vmcnt(0)
	global_atomic_cmpswap_x2 v[8:9], v2, v[3:6], s[6:7] offset:24 glc
	s_waitcnt vmcnt(0)
	buffer_gl1_inv
	buffer_gl0_inv
	v_cmp_eq_u64_e32 vcc_lo, v[8:9], v[5:6]
	s_or_b32 s11, vcc_lo, s11
	s_andn2_b32 exec_lo, exec_lo, s11
	s_cbranch_execnz .LBB2_220
; %bb.221:
	s_or_b32 exec_lo, exec_lo, s11
.LBB2_222:
	s_or_b32 exec_lo, exec_lo, s10
.LBB2_223:
	s_or_b32 exec_lo, exec_lo, s5
	s_waitcnt vmcnt(0)
	v_mov_b32_e32 v2, 0
	v_readfirstlane_b32 s11, v9
	v_readfirstlane_b32 s10, v8
	s_mov_b32 s5, exec_lo
	s_clause 0x1
	global_load_dwordx2 v[10:11], v2, s[6:7] offset:40
	global_load_dwordx4 v[4:7], v2, s[6:7]
	s_waitcnt vmcnt(1)
	v_readfirstlane_b32 s12, v10
	v_readfirstlane_b32 s13, v11
	s_and_b64 s[12:13], s[12:13], s[10:11]
	s_mul_i32 s14, s13, 24
	s_mul_hi_u32 s15, s12, 24
	s_mul_i32 s16, s12, 24
	s_add_i32 s15, s15, s14
	s_waitcnt vmcnt(0)
	v_add_co_u32 v8, vcc_lo, v4, s16
	v_add_co_ci_u32_e64 v9, null, s15, v5, vcc_lo
	s_and_saveexec_b32 s14, s4
	s_cbranch_execz .LBB2_225
; %bb.224:
	v_mov_b32_e32 v10, s5
	v_mov_b32_e32 v11, v2
	;; [unrolled: 1-line block ×4, first 2 shown]
	global_store_dwordx4 v[8:9], v[10:13], off offset:8
.LBB2_225:
	s_or_b32 exec_lo, exec_lo, s14
	s_lshl_b64 s[12:13], s[12:13], 12
	v_and_or_b32 v0, 0xffffff1f, v0, 32
	v_add_co_u32 v6, vcc_lo, v6, s12
	v_add_co_ci_u32_e64 v7, null, s13, v7, vcc_lo
	s_mov_b32 s12, 0
	v_readfirstlane_b32 s16, v6
	v_add_co_u32 v6, vcc_lo, v6, v28
	s_mov_b32 s13, s12
	s_mov_b32 s14, s12
	;; [unrolled: 1-line block ×3, first 2 shown]
	v_mov_b32_e32 v3, v2
	v_readfirstlane_b32 s17, v7
	v_mov_b32_e32 v10, s12
	v_add_co_ci_u32_e64 v7, null, 0, v7, vcc_lo
	v_mov_b32_e32 v11, s13
	v_mov_b32_e32 v12, s14
	;; [unrolled: 1-line block ×3, first 2 shown]
	global_store_dwordx4 v28, v[0:3], s[16:17]
	global_store_dwordx4 v28, v[10:13], s[16:17] offset:16
	global_store_dwordx4 v28, v[10:13], s[16:17] offset:32
	;; [unrolled: 1-line block ×3, first 2 shown]
	s_and_saveexec_b32 s5, s4
	s_cbranch_execz .LBB2_233
; %bb.226:
	v_mov_b32_e32 v10, 0
	v_mov_b32_e32 v11, s10
	;; [unrolled: 1-line block ×3, first 2 shown]
	s_clause 0x1
	global_load_dwordx2 v[13:14], v10, s[6:7] offset:32 glc dlc
	global_load_dwordx2 v[0:1], v10, s[6:7] offset:40
	s_waitcnt vmcnt(0)
	v_readfirstlane_b32 s12, v0
	v_readfirstlane_b32 s13, v1
	s_and_b64 s[12:13], s[12:13], s[10:11]
	s_mul_i32 s13, s13, 24
	s_mul_hi_u32 s14, s12, 24
	s_mul_i32 s12, s12, 24
	s_add_i32 s14, s14, s13
	v_add_co_u32 v4, vcc_lo, v4, s12
	v_add_co_ci_u32_e64 v5, null, s14, v5, vcc_lo
	s_mov_b32 s12, exec_lo
	global_store_dwordx2 v[4:5], v[13:14], off
	s_waitcnt_vscnt null, 0x0
	global_atomic_cmpswap_x2 v[2:3], v10, v[11:14], s[6:7] offset:32 glc
	s_waitcnt vmcnt(0)
	v_cmpx_ne_u64_e64 v[2:3], v[13:14]
	s_cbranch_execz .LBB2_229
; %bb.227:
	s_mov_b32 s13, 0
.LBB2_228:                              ; =>This Inner Loop Header: Depth=1
	v_mov_b32_e32 v0, s10
	v_mov_b32_e32 v1, s11
	s_sleep 1
	global_store_dwordx2 v[4:5], v[2:3], off
	s_waitcnt_vscnt null, 0x0
	global_atomic_cmpswap_x2 v[0:1], v10, v[0:3], s[6:7] offset:32 glc
	s_waitcnt vmcnt(0)
	v_cmp_eq_u64_e32 vcc_lo, v[0:1], v[2:3]
	v_mov_b32_e32 v3, v1
	v_mov_b32_e32 v2, v0
	s_or_b32 s13, vcc_lo, s13
	s_andn2_b32 exec_lo, exec_lo, s13
	s_cbranch_execnz .LBB2_228
.LBB2_229:
	s_or_b32 exec_lo, exec_lo, s12
	v_mov_b32_e32 v3, 0
	s_mov_b32 s13, exec_lo
	s_mov_b32 s12, exec_lo
	v_mbcnt_lo_u32_b32 v2, s13, 0
	global_load_dwordx2 v[0:1], v3, s[6:7] offset:16
	v_cmpx_eq_u32_e32 0, v2
	s_cbranch_execz .LBB2_231
; %bb.230:
	s_bcnt1_i32_b32 s13, s13
	v_mov_b32_e32 v2, s13
	s_waitcnt vmcnt(0)
	global_atomic_add_x2 v[0:1], v[2:3], off offset:8
.LBB2_231:
	s_or_b32 exec_lo, exec_lo, s12
	s_waitcnt vmcnt(0)
	global_load_dwordx2 v[2:3], v[0:1], off offset:16
	s_waitcnt vmcnt(0)
	v_cmp_eq_u64_e32 vcc_lo, 0, v[2:3]
	s_cbranch_vccnz .LBB2_233
; %bb.232:
	global_load_dword v0, v[0:1], off offset:24
	v_mov_b32_e32 v1, 0
	s_waitcnt vmcnt(0)
	v_readfirstlane_b32 s12, v0
	s_waitcnt_vscnt null, 0x0
	global_store_dwordx2 v[2:3], v[0:1], off
	s_and_b32 m0, s12, 0x7fffff
	s_sendmsg sendmsg(MSG_INTERRUPT)
.LBB2_233:
	s_or_b32 exec_lo, exec_lo, s5
	s_branch .LBB2_237
	.p2align	6
.LBB2_234:                              ;   in Loop: Header=BB2_237 Depth=1
	s_or_b32 exec_lo, exec_lo, s5
	v_readfirstlane_b32 s5, v0
	s_cmp_eq_u32 s5, 0
	s_cbranch_scc1 .LBB2_236
; %bb.235:                              ;   in Loop: Header=BB2_237 Depth=1
	s_sleep 1
	s_cbranch_execnz .LBB2_237
	s_branch .LBB2_239
	.p2align	6
.LBB2_236:
	s_branch .LBB2_239
.LBB2_237:                              ; =>This Inner Loop Header: Depth=1
	v_mov_b32_e32 v0, 1
	s_and_saveexec_b32 s5, s4
	s_cbranch_execz .LBB2_234
; %bb.238:                              ;   in Loop: Header=BB2_237 Depth=1
	global_load_dword v0, v[8:9], off offset:20 glc dlc
	s_waitcnt vmcnt(0)
	buffer_gl1_inv
	buffer_gl0_inv
	v_and_b32_e32 v0, 1, v0
	s_branch .LBB2_234
.LBB2_239:
	global_load_dwordx2 v[2:3], v[6:7], off
	s_and_saveexec_b32 s12, s4
	s_cbranch_execz .LBB2_243
; %bb.240:
	v_mov_b32_e32 v8, 0
	s_clause 0x2
	global_load_dwordx2 v[0:1], v8, s[6:7] offset:40
	global_load_dwordx2 v[11:12], v8, s[6:7] offset:24 glc dlc
	global_load_dwordx2 v[4:5], v8, s[6:7]
	s_waitcnt vmcnt(2)
	v_readfirstlane_b32 s14, v0
	v_readfirstlane_b32 s15, v1
	s_add_u32 s13, s14, 1
	s_addc_u32 s16, s15, 0
	s_add_u32 s4, s13, s10
	s_addc_u32 s5, s16, s11
	s_cmp_eq_u64 s[4:5], 0
	s_cselect_b32 s5, s16, s5
	s_cselect_b32 s4, s13, s4
	v_mov_b32_e32 v10, s5
	s_and_b64 s[10:11], s[4:5], s[14:15]
	v_mov_b32_e32 v9, s4
	s_mul_i32 s11, s11, 24
	s_mul_hi_u32 s13, s10, 24
	s_mul_i32 s10, s10, 24
	s_add_i32 s13, s13, s11
	s_waitcnt vmcnt(0)
	v_add_co_u32 v0, vcc_lo, v4, s10
	v_add_co_ci_u32_e64 v1, null, s13, v5, vcc_lo
	global_store_dwordx2 v[0:1], v[11:12], off
	s_waitcnt_vscnt null, 0x0
	global_atomic_cmpswap_x2 v[6:7], v8, v[9:12], s[6:7] offset:24 glc
	s_waitcnt vmcnt(0)
	v_cmp_ne_u64_e32 vcc_lo, v[6:7], v[11:12]
	s_and_b32 exec_lo, exec_lo, vcc_lo
	s_cbranch_execz .LBB2_243
; %bb.241:
	s_mov_b32 s10, 0
.LBB2_242:                              ; =>This Inner Loop Header: Depth=1
	v_mov_b32_e32 v4, s4
	v_mov_b32_e32 v5, s5
	s_sleep 1
	global_store_dwordx2 v[0:1], v[6:7], off
	s_waitcnt_vscnt null, 0x0
	global_atomic_cmpswap_x2 v[4:5], v8, v[4:7], s[6:7] offset:24 glc
	s_waitcnt vmcnt(0)
	v_cmp_eq_u64_e32 vcc_lo, v[4:5], v[6:7]
	v_mov_b32_e32 v7, v5
	v_mov_b32_e32 v6, v4
	s_or_b32 s10, vcc_lo, s10
	s_andn2_b32 exec_lo, exec_lo, s10
	s_cbranch_execnz .LBB2_242
.LBB2_243:
	s_or_b32 exec_lo, exec_lo, s12
.LBB2_244:
	v_readfirstlane_b32 s4, v29
	s_waitcnt vmcnt(0)
	v_mov_b32_e32 v0, 0
	v_mov_b32_e32 v1, 0
	v_cmp_eq_u32_e64 s4, s4, v29
	s_and_saveexec_b32 s5, s4
	s_cbranch_execz .LBB2_250
; %bb.245:
	v_mov_b32_e32 v4, 0
	s_mov_b32 s10, exec_lo
	global_load_dwordx2 v[7:8], v4, s[6:7] offset:24 glc dlc
	s_waitcnt vmcnt(0)
	buffer_gl1_inv
	buffer_gl0_inv
	s_clause 0x1
	global_load_dwordx2 v[0:1], v4, s[6:7] offset:40
	global_load_dwordx2 v[5:6], v4, s[6:7]
	s_waitcnt vmcnt(1)
	v_and_b32_e32 v1, v1, v8
	v_and_b32_e32 v0, v0, v7
	v_mul_lo_u32 v1, v1, 24
	v_mul_hi_u32 v9, v0, 24
	v_mul_lo_u32 v0, v0, 24
	v_add_nc_u32_e32 v1, v9, v1
	s_waitcnt vmcnt(0)
	v_add_co_u32 v0, vcc_lo, v5, v0
	v_add_co_ci_u32_e64 v1, null, v6, v1, vcc_lo
	global_load_dwordx2 v[5:6], v[0:1], off glc dlc
	s_waitcnt vmcnt(0)
	global_atomic_cmpswap_x2 v[0:1], v4, v[5:8], s[6:7] offset:24 glc
	s_waitcnt vmcnt(0)
	buffer_gl1_inv
	buffer_gl0_inv
	v_cmpx_ne_u64_e64 v[0:1], v[7:8]
	s_cbranch_execz .LBB2_249
; %bb.246:
	s_mov_b32 s11, 0
	.p2align	6
.LBB2_247:                              ; =>This Inner Loop Header: Depth=1
	s_sleep 1
	s_clause 0x1
	global_load_dwordx2 v[5:6], v4, s[6:7] offset:40
	global_load_dwordx2 v[9:10], v4, s[6:7]
	v_mov_b32_e32 v8, v1
	v_mov_b32_e32 v7, v0
	s_waitcnt vmcnt(1)
	v_and_b32_e32 v0, v5, v7
	v_and_b32_e32 v5, v6, v8
	s_waitcnt vmcnt(0)
	v_mad_u64_u32 v[0:1], null, v0, 24, v[9:10]
	v_mad_u64_u32 v[5:6], null, v5, 24, v[1:2]
	v_mov_b32_e32 v1, v5
	global_load_dwordx2 v[5:6], v[0:1], off glc dlc
	s_waitcnt vmcnt(0)
	global_atomic_cmpswap_x2 v[0:1], v4, v[5:8], s[6:7] offset:24 glc
	s_waitcnt vmcnt(0)
	buffer_gl1_inv
	buffer_gl0_inv
	v_cmp_eq_u64_e32 vcc_lo, v[0:1], v[7:8]
	s_or_b32 s11, vcc_lo, s11
	s_andn2_b32 exec_lo, exec_lo, s11
	s_cbranch_execnz .LBB2_247
; %bb.248:
	s_or_b32 exec_lo, exec_lo, s11
.LBB2_249:
	s_or_b32 exec_lo, exec_lo, s10
.LBB2_250:
	s_or_b32 exec_lo, exec_lo, s5
	v_mov_b32_e32 v5, 0
	v_readfirstlane_b32 s11, v1
	v_readfirstlane_b32 s10, v0
	s_mov_b32 s5, exec_lo
	s_clause 0x1
	global_load_dwordx2 v[10:11], v5, s[6:7] offset:40
	global_load_dwordx4 v[6:9], v5, s[6:7]
	s_waitcnt vmcnt(1)
	v_readfirstlane_b32 s12, v10
	v_readfirstlane_b32 s13, v11
	s_and_b64 s[12:13], s[12:13], s[10:11]
	s_mul_i32 s14, s13, 24
	s_mul_hi_u32 s15, s12, 24
	s_mul_i32 s16, s12, 24
	s_add_i32 s15, s15, s14
	s_waitcnt vmcnt(0)
	v_add_co_u32 v10, vcc_lo, v6, s16
	v_add_co_ci_u32_e64 v11, null, s15, v7, vcc_lo
	s_and_saveexec_b32 s14, s4
	s_cbranch_execz .LBB2_252
; %bb.251:
	v_mov_b32_e32 v4, s5
	v_mov_b32_e32 v13, v5
	;; [unrolled: 1-line block ×5, first 2 shown]
	global_store_dwordx4 v[10:11], v[12:15], off offset:8
.LBB2_252:
	s_or_b32 exec_lo, exec_lo, s14
	s_lshl_b64 s[12:13], s[12:13], 12
	v_and_or_b32 v2, 0xffffff1f, v2, 32
	v_add_co_u32 v0, vcc_lo, v8, s12
	v_add_co_ci_u32_e64 v1, null, s13, v9, vcc_lo
	s_mov_b32 s12, 0
	v_add_co_u32 v8, vcc_lo, v0, v28
	s_mov_b32 s13, s12
	s_mov_b32 s14, s12
	;; [unrolled: 1-line block ×3, first 2 shown]
	v_mov_b32_e32 v4, 0x763
	v_readfirstlane_b32 s16, v0
	v_readfirstlane_b32 s17, v1
	v_mov_b32_e32 v12, s12
	v_add_co_ci_u32_e64 v9, null, 0, v1, vcc_lo
	v_mov_b32_e32 v13, s13
	v_mov_b32_e32 v14, s14
	;; [unrolled: 1-line block ×3, first 2 shown]
	global_store_dwordx4 v28, v[2:5], s[16:17]
	global_store_dwordx4 v28, v[12:15], s[16:17] offset:16
	global_store_dwordx4 v28, v[12:15], s[16:17] offset:32
	;; [unrolled: 1-line block ×3, first 2 shown]
	s_and_saveexec_b32 s5, s4
	s_cbranch_execz .LBB2_260
; %bb.253:
	v_mov_b32_e32 v12, 0
	v_mov_b32_e32 v13, s10
	;; [unrolled: 1-line block ×3, first 2 shown]
	s_clause 0x1
	global_load_dwordx2 v[15:16], v12, s[6:7] offset:32 glc dlc
	global_load_dwordx2 v[0:1], v12, s[6:7] offset:40
	s_waitcnt vmcnt(0)
	v_readfirstlane_b32 s12, v0
	v_readfirstlane_b32 s13, v1
	s_and_b64 s[12:13], s[12:13], s[10:11]
	s_mul_i32 s13, s13, 24
	s_mul_hi_u32 s14, s12, 24
	s_mul_i32 s12, s12, 24
	s_add_i32 s14, s14, s13
	v_add_co_u32 v4, vcc_lo, v6, s12
	v_add_co_ci_u32_e64 v5, null, s14, v7, vcc_lo
	s_mov_b32 s12, exec_lo
	global_store_dwordx2 v[4:5], v[15:16], off
	s_waitcnt_vscnt null, 0x0
	global_atomic_cmpswap_x2 v[2:3], v12, v[13:16], s[6:7] offset:32 glc
	s_waitcnt vmcnt(0)
	v_cmpx_ne_u64_e64 v[2:3], v[15:16]
	s_cbranch_execz .LBB2_256
; %bb.254:
	s_mov_b32 s13, 0
.LBB2_255:                              ; =>This Inner Loop Header: Depth=1
	v_mov_b32_e32 v0, s10
	v_mov_b32_e32 v1, s11
	s_sleep 1
	global_store_dwordx2 v[4:5], v[2:3], off
	s_waitcnt_vscnt null, 0x0
	global_atomic_cmpswap_x2 v[0:1], v12, v[0:3], s[6:7] offset:32 glc
	s_waitcnt vmcnt(0)
	v_cmp_eq_u64_e32 vcc_lo, v[0:1], v[2:3]
	v_mov_b32_e32 v3, v1
	v_mov_b32_e32 v2, v0
	s_or_b32 s13, vcc_lo, s13
	s_andn2_b32 exec_lo, exec_lo, s13
	s_cbranch_execnz .LBB2_255
.LBB2_256:
	s_or_b32 exec_lo, exec_lo, s12
	v_mov_b32_e32 v3, 0
	s_mov_b32 s13, exec_lo
	s_mov_b32 s12, exec_lo
	v_mbcnt_lo_u32_b32 v2, s13, 0
	global_load_dwordx2 v[0:1], v3, s[6:7] offset:16
	v_cmpx_eq_u32_e32 0, v2
	s_cbranch_execz .LBB2_258
; %bb.257:
	s_bcnt1_i32_b32 s13, s13
	v_mov_b32_e32 v2, s13
	s_waitcnt vmcnt(0)
	global_atomic_add_x2 v[0:1], v[2:3], off offset:8
.LBB2_258:
	s_or_b32 exec_lo, exec_lo, s12
	s_waitcnt vmcnt(0)
	global_load_dwordx2 v[2:3], v[0:1], off offset:16
	s_waitcnt vmcnt(0)
	v_cmp_eq_u64_e32 vcc_lo, 0, v[2:3]
	s_cbranch_vccnz .LBB2_260
; %bb.259:
	global_load_dword v0, v[0:1], off offset:24
	v_mov_b32_e32 v1, 0
	s_waitcnt vmcnt(0)
	v_readfirstlane_b32 s12, v0
	s_waitcnt_vscnt null, 0x0
	global_store_dwordx2 v[2:3], v[0:1], off
	s_and_b32 m0, s12, 0x7fffff
	s_sendmsg sendmsg(MSG_INTERRUPT)
.LBB2_260:
	s_or_b32 exec_lo, exec_lo, s5
	s_branch .LBB2_264
	.p2align	6
.LBB2_261:                              ;   in Loop: Header=BB2_264 Depth=1
	s_or_b32 exec_lo, exec_lo, s5
	v_readfirstlane_b32 s5, v0
	s_cmp_eq_u32 s5, 0
	s_cbranch_scc1 .LBB2_263
; %bb.262:                              ;   in Loop: Header=BB2_264 Depth=1
	s_sleep 1
	s_cbranch_execnz .LBB2_264
	s_branch .LBB2_266
	.p2align	6
.LBB2_263:
	s_branch .LBB2_266
.LBB2_264:                              ; =>This Inner Loop Header: Depth=1
	v_mov_b32_e32 v0, 1
	s_and_saveexec_b32 s5, s4
	s_cbranch_execz .LBB2_261
; %bb.265:                              ;   in Loop: Header=BB2_264 Depth=1
	global_load_dword v0, v[10:11], off offset:20 glc dlc
	s_waitcnt vmcnt(0)
	buffer_gl1_inv
	buffer_gl0_inv
	v_and_b32_e32 v0, 1, v0
	s_branch .LBB2_261
.LBB2_266:
	global_load_dwordx2 v[0:1], v[8:9], off
	s_and_saveexec_b32 s12, s4
	s_cbranch_execz .LBB2_270
; %bb.267:
	v_mov_b32_e32 v8, 0
	s_clause 0x2
	global_load_dwordx2 v[2:3], v8, s[6:7] offset:40
	global_load_dwordx2 v[11:12], v8, s[6:7] offset:24 glc dlc
	global_load_dwordx2 v[4:5], v8, s[6:7]
	s_waitcnt vmcnt(2)
	v_readfirstlane_b32 s14, v2
	v_readfirstlane_b32 s15, v3
	s_add_u32 s13, s14, 1
	s_addc_u32 s16, s15, 0
	s_add_u32 s4, s13, s10
	s_addc_u32 s5, s16, s11
	s_cmp_eq_u64 s[4:5], 0
	s_cselect_b32 s5, s16, s5
	s_cselect_b32 s4, s13, s4
	v_mov_b32_e32 v10, s5
	s_and_b64 s[10:11], s[4:5], s[14:15]
	v_mov_b32_e32 v9, s4
	s_mul_i32 s11, s11, 24
	s_mul_hi_u32 s13, s10, 24
	s_mul_i32 s10, s10, 24
	s_add_i32 s13, s13, s11
	s_waitcnt vmcnt(0)
	v_add_co_u32 v6, vcc_lo, v4, s10
	v_add_co_ci_u32_e64 v7, null, s13, v5, vcc_lo
	global_store_dwordx2 v[6:7], v[11:12], off
	s_waitcnt_vscnt null, 0x0
	global_atomic_cmpswap_x2 v[4:5], v8, v[9:12], s[6:7] offset:24 glc
	s_waitcnt vmcnt(0)
	v_cmp_ne_u64_e32 vcc_lo, v[4:5], v[11:12]
	s_and_b32 exec_lo, exec_lo, vcc_lo
	s_cbranch_execz .LBB2_270
; %bb.268:
	s_mov_b32 s10, 0
.LBB2_269:                              ; =>This Inner Loop Header: Depth=1
	v_mov_b32_e32 v2, s4
	v_mov_b32_e32 v3, s5
	s_sleep 1
	global_store_dwordx2 v[6:7], v[4:5], off
	s_waitcnt_vscnt null, 0x0
	global_atomic_cmpswap_x2 v[2:3], v8, v[2:5], s[6:7] offset:24 glc
	s_waitcnt vmcnt(0)
	v_cmp_eq_u64_e32 vcc_lo, v[2:3], v[4:5]
	v_mov_b32_e32 v5, v3
	v_mov_b32_e32 v4, v2
	s_or_b32 s10, vcc_lo, s10
	s_andn2_b32 exec_lo, exec_lo, s10
	s_cbranch_execnz .LBB2_269
.LBB2_270:
	s_or_b32 exec_lo, exec_lo, s12
	s_getpc_b64 s[4:5]
	s_add_u32 s4, s4, __FUNCTION__._ZL18flash_attn_ext_f16ILi64ELi64ELi8ELi1ELb0ELb0EEvPKcS1_S1_S1_S1_PKiPfP15HIP_vector_typeIfLj2EEffffjfiS5_IjLj3EEiiiiiiiiiiiliiliiiiil@rel32@lo+4
	s_addc_u32 s5, s5, __FUNCTION__._ZL18flash_attn_ext_f16ILi64ELi64ELi8ELi1ELb0ELb0EEvPKcS1_S1_S1_S1_PKiPfP15HIP_vector_typeIfLj2EEffffjfiS5_IjLj3EEiiiiiiiiiiiliiliiiiil@rel32@hi+12
	v_mov_b32_e32 v2, s4
	s_cmp_lg_u64 s[4:5], 0
	v_mov_b32_e32 v3, s5
	s_cselect_b32 s10, 19, 0
	v_mov_b32_e32 v5, 0
	v_mov_b32_e32 v4, s10
	s_getpc_b64 s[6:7]
	s_add_u32 s6, s6, __ockl_printf_append_string_n@rel32@lo+4
	s_addc_u32 s7, s7, __ockl_printf_append_string_n@rel32@hi+12
	s_mov_b64 s[20:21], s[8:9]
	s_swappc_b64 s[30:31], s[6:7]
	v_mov_b32_e32 v2, 0x514
	v_mov_b32_e32 v3, 0
	;; [unrolled: 1-line block ×3, first 2 shown]
	s_getpc_b64 s[4:5]
	s_add_u32 s4, s4, __ockl_printf_append_args@rel32@lo+4
	s_addc_u32 s5, s5, __ockl_printf_append_args@rel32@hi+12
	s_mov_b64 s[8:9], s[20:21]
	s_swappc_b64 s[30:31], s[4:5]
	s_trap 2
.Lfunc_end2:
	.size	_ZL14no_device_codePKciS0_iS0_, .Lfunc_end2-_ZL14no_device_codePKciS0_iS0_
                                        ; -- End function
	.set .L_ZL14no_device_codePKciS0_iS0_.num_vgpr, max(40, .L__ockl_printf_append_string_n.num_vgpr, .L__ockl_printf_append_args.num_vgpr)
	.set .L_ZL14no_device_codePKciS0_iS0_.num_agpr, max(0, .L__ockl_printf_append_string_n.num_agpr, .L__ockl_printf_append_args.num_agpr)
	.set .L_ZL14no_device_codePKciS0_iS0_.numbered_sgpr, max(34, .L__ockl_printf_append_string_n.numbered_sgpr, .L__ockl_printf_append_args.numbered_sgpr)
	.set .L_ZL14no_device_codePKciS0_iS0_.num_named_barrier, max(0, .L__ockl_printf_append_string_n.num_named_barrier, .L__ockl_printf_append_args.num_named_barrier)
	.set .L_ZL14no_device_codePKciS0_iS0_.private_seg_size, 16+max(.L__ockl_printf_append_string_n.private_seg_size, .L__ockl_printf_append_args.private_seg_size)
	.set .L_ZL14no_device_codePKciS0_iS0_.uses_vcc, or(1, .L__ockl_printf_append_string_n.uses_vcc, .L__ockl_printf_append_args.uses_vcc)
	.set .L_ZL14no_device_codePKciS0_iS0_.uses_flat_scratch, or(0, .L__ockl_printf_append_string_n.uses_flat_scratch, .L__ockl_printf_append_args.uses_flat_scratch)
	.set .L_ZL14no_device_codePKciS0_iS0_.has_dyn_sized_stack, or(0, .L__ockl_printf_append_string_n.has_dyn_sized_stack, .L__ockl_printf_append_args.has_dyn_sized_stack)
	.set .L_ZL14no_device_codePKciS0_iS0_.has_recursion, or(0, .L__ockl_printf_append_string_n.has_recursion, .L__ockl_printf_append_args.has_recursion)
	.set .L_ZL14no_device_codePKciS0_iS0_.has_indirect_call, or(0, .L__ockl_printf_append_string_n.has_indirect_call, .L__ockl_printf_append_args.has_indirect_call)
	.section	.AMDGPU.csdata,"",@progbits
; Function info:
; codeLenInByte = 10460
; TotalNumSgprs: 36
; NumVgprs: 40
; ScratchSize: 16
; MemoryBound: 0
	.section	.text._ZL18flash_attn_ext_f16ILi64ELi64ELi8ELi1ELb0ELb0EEvPKcS1_S1_S1_S1_PKiPfP15HIP_vector_typeIfLj2EEffffjfiS5_IjLj3EEiiiiiiiiiiiliiliiiiil,"axG",@progbits,_ZL18flash_attn_ext_f16ILi64ELi64ELi8ELi1ELb0ELb0EEvPKcS1_S1_S1_S1_PKiPfP15HIP_vector_typeIfLj2EEffffjfiS5_IjLj3EEiiiiiiiiiiiliiliiiiil,comdat
	.globl	_ZL18flash_attn_ext_f16ILi64ELi64ELi8ELi1ELb0ELb0EEvPKcS1_S1_S1_S1_PKiPfP15HIP_vector_typeIfLj2EEffffjfiS5_IjLj3EEiiiiiiiiiiiliiliiiiil ; -- Begin function _ZL18flash_attn_ext_f16ILi64ELi64ELi8ELi1ELb0ELb0EEvPKcS1_S1_S1_S1_PKiPfP15HIP_vector_typeIfLj2EEffffjfiS5_IjLj3EEiiiiiiiiiiiliiliiiiil
	.p2align	8
	.type	_ZL18flash_attn_ext_f16ILi64ELi64ELi8ELi1ELb0ELb0EEvPKcS1_S1_S1_S1_PKiPfP15HIP_vector_typeIfLj2EEffffjfiS5_IjLj3EEiiiiiiiiiiiliiliiiiil,@function
_ZL18flash_attn_ext_f16ILi64ELi64ELi8ELi1ELb0ELb0EEvPKcS1_S1_S1_S1_PKiPfP15HIP_vector_typeIfLj2EEffffjfiS5_IjLj3EEiiiiiiiiiiiliiliiiiil: ; @_ZL18flash_attn_ext_f16ILi64ELi64ELi8ELi1ELb0ELb0EEvPKcS1_S1_S1_S1_PKiPfP15HIP_vector_typeIfLj2EEffffjfiS5_IjLj3EEiiiiiiiiiiiliiliiiiil
; %bb.0:
	s_add_u32 s0, s0, s7
	s_addc_u32 s1, s1, 0
	s_add_u32 s8, s4, 0xd0
	s_addc_u32 s9, s5, 0
	s_getpc_b64 s[4:5]
	s_add_u32 s4, s4, _ZL14no_device_codePKciS0_iS0_@rel32@lo+4
	s_addc_u32 s5, s5, _ZL14no_device_codePKciS0_iS0_@rel32@hi+12
	s_mov_b32 s32, 0
	s_swappc_b64 s[30:31], s[4:5]
	.section	.rodata,"a",@progbits
	.p2align	6, 0x0
	.amdhsa_kernel _ZL18flash_attn_ext_f16ILi64ELi64ELi8ELi1ELb0ELb0EEvPKcS1_S1_S1_S1_PKiPfP15HIP_vector_typeIfLj2EEffffjfiS5_IjLj3EEiiiiiiiiiiiliiliiiiil
		.amdhsa_group_segment_fixed_size 0
		.amdhsa_private_segment_fixed_size 16
		.amdhsa_kernarg_size 464
		.amdhsa_user_sgpr_count 6
		.amdhsa_user_sgpr_private_segment_buffer 1
		.amdhsa_user_sgpr_dispatch_ptr 0
		.amdhsa_user_sgpr_queue_ptr 0
		.amdhsa_user_sgpr_kernarg_segment_ptr 1
		.amdhsa_user_sgpr_dispatch_id 0
		.amdhsa_user_sgpr_flat_scratch_init 0
		.amdhsa_user_sgpr_private_segment_size 0
		.amdhsa_wavefront_size32 1
		.amdhsa_uses_dynamic_stack 0
		.amdhsa_system_sgpr_private_segment_wavefront_offset 1
		.amdhsa_system_sgpr_workgroup_id_x 1
		.amdhsa_system_sgpr_workgroup_id_y 0
		.amdhsa_system_sgpr_workgroup_id_z 0
		.amdhsa_system_sgpr_workgroup_info 0
		.amdhsa_system_vgpr_workitem_id 0
		.amdhsa_next_free_vgpr 40
		.amdhsa_next_free_sgpr 34
		.amdhsa_reserve_vcc 1
		.amdhsa_reserve_flat_scratch 0
		.amdhsa_float_round_mode_32 0
		.amdhsa_float_round_mode_16_64 0
		.amdhsa_float_denorm_mode_32 3
		.amdhsa_float_denorm_mode_16_64 3
		.amdhsa_dx10_clamp 1
		.amdhsa_ieee_mode 1
		.amdhsa_fp16_overflow 0
		.amdhsa_workgroup_processor_mode 1
		.amdhsa_memory_ordered 1
		.amdhsa_forward_progress 1
		.amdhsa_shared_vgpr_count 0
		.amdhsa_exception_fp_ieee_invalid_op 0
		.amdhsa_exception_fp_denorm_src 0
		.amdhsa_exception_fp_ieee_div_zero 0
		.amdhsa_exception_fp_ieee_overflow 0
		.amdhsa_exception_fp_ieee_underflow 0
		.amdhsa_exception_fp_ieee_inexact 0
		.amdhsa_exception_int_div_zero 0
	.end_amdhsa_kernel
	.section	.text._ZL18flash_attn_ext_f16ILi64ELi64ELi8ELi1ELb0ELb0EEvPKcS1_S1_S1_S1_PKiPfP15HIP_vector_typeIfLj2EEffffjfiS5_IjLj3EEiiiiiiiiiiiliiliiiiil,"axG",@progbits,_ZL18flash_attn_ext_f16ILi64ELi64ELi8ELi1ELb0ELb0EEvPKcS1_S1_S1_S1_PKiPfP15HIP_vector_typeIfLj2EEffffjfiS5_IjLj3EEiiiiiiiiiiiliiliiiiil,comdat
.Lfunc_end3:
	.size	_ZL18flash_attn_ext_f16ILi64ELi64ELi8ELi1ELb0ELb0EEvPKcS1_S1_S1_S1_PKiPfP15HIP_vector_typeIfLj2EEffffjfiS5_IjLj3EEiiiiiiiiiiiliiliiiiil, .Lfunc_end3-_ZL18flash_attn_ext_f16ILi64ELi64ELi8ELi1ELb0ELb0EEvPKcS1_S1_S1_S1_PKiPfP15HIP_vector_typeIfLj2EEffffjfiS5_IjLj3EEiiiiiiiiiiiliiliiiiil
                                        ; -- End function
	.set _ZL18flash_attn_ext_f16ILi64ELi64ELi8ELi1ELb0ELb0EEvPKcS1_S1_S1_S1_PKiPfP15HIP_vector_typeIfLj2EEffffjfiS5_IjLj3EEiiiiiiiiiiiliiliiiiil.num_vgpr, max(0, .L_ZL14no_device_codePKciS0_iS0_.num_vgpr)
	.set _ZL18flash_attn_ext_f16ILi64ELi64ELi8ELi1ELb0ELb0EEvPKcS1_S1_S1_S1_PKiPfP15HIP_vector_typeIfLj2EEffffjfiS5_IjLj3EEiiiiiiiiiiiliiliiiiil.num_agpr, max(0, .L_ZL14no_device_codePKciS0_iS0_.num_agpr)
	.set _ZL18flash_attn_ext_f16ILi64ELi64ELi8ELi1ELb0ELb0EEvPKcS1_S1_S1_S1_PKiPfP15HIP_vector_typeIfLj2EEffffjfiS5_IjLj3EEiiiiiiiiiiiliiliiiiil.numbered_sgpr, max(33, .L_ZL14no_device_codePKciS0_iS0_.numbered_sgpr)
	.set _ZL18flash_attn_ext_f16ILi64ELi64ELi8ELi1ELb0ELb0EEvPKcS1_S1_S1_S1_PKiPfP15HIP_vector_typeIfLj2EEffffjfiS5_IjLj3EEiiiiiiiiiiiliiliiiiil.num_named_barrier, max(0, .L_ZL14no_device_codePKciS0_iS0_.num_named_barrier)
	.set _ZL18flash_attn_ext_f16ILi64ELi64ELi8ELi1ELb0ELb0EEvPKcS1_S1_S1_S1_PKiPfP15HIP_vector_typeIfLj2EEffffjfiS5_IjLj3EEiiiiiiiiiiiliiliiiiil.private_seg_size, 0+max(.L_ZL14no_device_codePKciS0_iS0_.private_seg_size)
	.set _ZL18flash_attn_ext_f16ILi64ELi64ELi8ELi1ELb0ELb0EEvPKcS1_S1_S1_S1_PKiPfP15HIP_vector_typeIfLj2EEffffjfiS5_IjLj3EEiiiiiiiiiiiliiliiiiil.uses_vcc, or(1, .L_ZL14no_device_codePKciS0_iS0_.uses_vcc)
	.set _ZL18flash_attn_ext_f16ILi64ELi64ELi8ELi1ELb0ELb0EEvPKcS1_S1_S1_S1_PKiPfP15HIP_vector_typeIfLj2EEffffjfiS5_IjLj3EEiiiiiiiiiiiliiliiiiil.uses_flat_scratch, or(0, .L_ZL14no_device_codePKciS0_iS0_.uses_flat_scratch)
	.set _ZL18flash_attn_ext_f16ILi64ELi64ELi8ELi1ELb0ELb0EEvPKcS1_S1_S1_S1_PKiPfP15HIP_vector_typeIfLj2EEffffjfiS5_IjLj3EEiiiiiiiiiiiliiliiiiil.has_dyn_sized_stack, or(0, .L_ZL14no_device_codePKciS0_iS0_.has_dyn_sized_stack)
	.set _ZL18flash_attn_ext_f16ILi64ELi64ELi8ELi1ELb0ELb0EEvPKcS1_S1_S1_S1_PKiPfP15HIP_vector_typeIfLj2EEffffjfiS5_IjLj3EEiiiiiiiiiiiliiliiiiil.has_recursion, or(0, .L_ZL14no_device_codePKciS0_iS0_.has_recursion)
	.set _ZL18flash_attn_ext_f16ILi64ELi64ELi8ELi1ELb0ELb0EEvPKcS1_S1_S1_S1_PKiPfP15HIP_vector_typeIfLj2EEffffjfiS5_IjLj3EEiiiiiiiiiiiliiliiiiil.has_indirect_call, or(0, .L_ZL14no_device_codePKciS0_iS0_.has_indirect_call)
	.section	.AMDGPU.csdata,"",@progbits
; Kernel info:
; codeLenInByte = 48
; TotalNumSgprs: 36
; NumVgprs: 40
; ScratchSize: 16
; MemoryBound: 0
; FloatMode: 240
; IeeeMode: 1
; LDSByteSize: 0 bytes/workgroup (compile time only)
; SGPRBlocks: 0
; VGPRBlocks: 4
; NumSGPRsForWavesPerEU: 36
; NumVGPRsForWavesPerEU: 40
; Occupancy: 16
; WaveLimiterHint : 1
; COMPUTE_PGM_RSRC2:SCRATCH_EN: 1
; COMPUTE_PGM_RSRC2:USER_SGPR: 6
; COMPUTE_PGM_RSRC2:TRAP_HANDLER: 0
; COMPUTE_PGM_RSRC2:TGID_X_EN: 1
; COMPUTE_PGM_RSRC2:TGID_Y_EN: 0
; COMPUTE_PGM_RSRC2:TGID_Z_EN: 0
; COMPUTE_PGM_RSRC2:TIDIG_COMP_CNT: 0
	.section	.text._ZL18flash_attn_ext_f16ILi64ELi64ELi8ELi1ELb1ELb0EEvPKcS1_S1_S1_S1_PKiPfP15HIP_vector_typeIfLj2EEffffjfiS5_IjLj3EEiiiiiiiiiiiliiliiiiil,"axG",@progbits,_ZL18flash_attn_ext_f16ILi64ELi64ELi8ELi1ELb1ELb0EEvPKcS1_S1_S1_S1_PKiPfP15HIP_vector_typeIfLj2EEffffjfiS5_IjLj3EEiiiiiiiiiiiliiliiiiil,comdat
	.globl	_ZL18flash_attn_ext_f16ILi64ELi64ELi8ELi1ELb1ELb0EEvPKcS1_S1_S1_S1_PKiPfP15HIP_vector_typeIfLj2EEffffjfiS5_IjLj3EEiiiiiiiiiiiliiliiiiil ; -- Begin function _ZL18flash_attn_ext_f16ILi64ELi64ELi8ELi1ELb1ELb0EEvPKcS1_S1_S1_S1_PKiPfP15HIP_vector_typeIfLj2EEffffjfiS5_IjLj3EEiiiiiiiiiiiliiliiiiil
	.p2align	8
	.type	_ZL18flash_attn_ext_f16ILi64ELi64ELi8ELi1ELb1ELb0EEvPKcS1_S1_S1_S1_PKiPfP15HIP_vector_typeIfLj2EEffffjfiS5_IjLj3EEiiiiiiiiiiiliiliiiiil,@function
_ZL18flash_attn_ext_f16ILi64ELi64ELi8ELi1ELb1ELb0EEvPKcS1_S1_S1_S1_PKiPfP15HIP_vector_typeIfLj2EEffffjfiS5_IjLj3EEiiiiiiiiiiiliiliiiiil: ; @_ZL18flash_attn_ext_f16ILi64ELi64ELi8ELi1ELb1ELb0EEvPKcS1_S1_S1_S1_PKiPfP15HIP_vector_typeIfLj2EEffffjfiS5_IjLj3EEiiiiiiiiiiiliiliiiiil
; %bb.0:
	s_add_u32 s0, s0, s7
	s_addc_u32 s1, s1, 0
	s_add_u32 s8, s4, 0xd0
	s_addc_u32 s9, s5, 0
	s_getpc_b64 s[4:5]
	s_add_u32 s4, s4, _ZL14no_device_codePKciS0_iS0_@rel32@lo+4
	s_addc_u32 s5, s5, _ZL14no_device_codePKciS0_iS0_@rel32@hi+12
	s_mov_b32 s32, 0
	s_swappc_b64 s[30:31], s[4:5]
	.section	.rodata,"a",@progbits
	.p2align	6, 0x0
	.amdhsa_kernel _ZL18flash_attn_ext_f16ILi64ELi64ELi8ELi1ELb1ELb0EEvPKcS1_S1_S1_S1_PKiPfP15HIP_vector_typeIfLj2EEffffjfiS5_IjLj3EEiiiiiiiiiiiliiliiiiil
		.amdhsa_group_segment_fixed_size 0
		.amdhsa_private_segment_fixed_size 16
		.amdhsa_kernarg_size 464
		.amdhsa_user_sgpr_count 6
		.amdhsa_user_sgpr_private_segment_buffer 1
		.amdhsa_user_sgpr_dispatch_ptr 0
		.amdhsa_user_sgpr_queue_ptr 0
		.amdhsa_user_sgpr_kernarg_segment_ptr 1
		.amdhsa_user_sgpr_dispatch_id 0
		.amdhsa_user_sgpr_flat_scratch_init 0
		.amdhsa_user_sgpr_private_segment_size 0
		.amdhsa_wavefront_size32 1
		.amdhsa_uses_dynamic_stack 0
		.amdhsa_system_sgpr_private_segment_wavefront_offset 1
		.amdhsa_system_sgpr_workgroup_id_x 1
		.amdhsa_system_sgpr_workgroup_id_y 0
		.amdhsa_system_sgpr_workgroup_id_z 0
		.amdhsa_system_sgpr_workgroup_info 0
		.amdhsa_system_vgpr_workitem_id 0
		.amdhsa_next_free_vgpr 40
		.amdhsa_next_free_sgpr 34
		.amdhsa_reserve_vcc 1
		.amdhsa_reserve_flat_scratch 0
		.amdhsa_float_round_mode_32 0
		.amdhsa_float_round_mode_16_64 0
		.amdhsa_float_denorm_mode_32 3
		.amdhsa_float_denorm_mode_16_64 3
		.amdhsa_dx10_clamp 1
		.amdhsa_ieee_mode 1
		.amdhsa_fp16_overflow 0
		.amdhsa_workgroup_processor_mode 1
		.amdhsa_memory_ordered 1
		.amdhsa_forward_progress 1
		.amdhsa_shared_vgpr_count 0
		.amdhsa_exception_fp_ieee_invalid_op 0
		.amdhsa_exception_fp_denorm_src 0
		.amdhsa_exception_fp_ieee_div_zero 0
		.amdhsa_exception_fp_ieee_overflow 0
		.amdhsa_exception_fp_ieee_underflow 0
		.amdhsa_exception_fp_ieee_inexact 0
		.amdhsa_exception_int_div_zero 0
	.end_amdhsa_kernel
	.section	.text._ZL18flash_attn_ext_f16ILi64ELi64ELi8ELi1ELb1ELb0EEvPKcS1_S1_S1_S1_PKiPfP15HIP_vector_typeIfLj2EEffffjfiS5_IjLj3EEiiiiiiiiiiiliiliiiiil,"axG",@progbits,_ZL18flash_attn_ext_f16ILi64ELi64ELi8ELi1ELb1ELb0EEvPKcS1_S1_S1_S1_PKiPfP15HIP_vector_typeIfLj2EEffffjfiS5_IjLj3EEiiiiiiiiiiiliiliiiiil,comdat
.Lfunc_end4:
	.size	_ZL18flash_attn_ext_f16ILi64ELi64ELi8ELi1ELb1ELb0EEvPKcS1_S1_S1_S1_PKiPfP15HIP_vector_typeIfLj2EEffffjfiS5_IjLj3EEiiiiiiiiiiiliiliiiiil, .Lfunc_end4-_ZL18flash_attn_ext_f16ILi64ELi64ELi8ELi1ELb1ELb0EEvPKcS1_S1_S1_S1_PKiPfP15HIP_vector_typeIfLj2EEffffjfiS5_IjLj3EEiiiiiiiiiiiliiliiiiil
                                        ; -- End function
	.set _ZL18flash_attn_ext_f16ILi64ELi64ELi8ELi1ELb1ELb0EEvPKcS1_S1_S1_S1_PKiPfP15HIP_vector_typeIfLj2EEffffjfiS5_IjLj3EEiiiiiiiiiiiliiliiiiil.num_vgpr, max(0, .L_ZL14no_device_codePKciS0_iS0_.num_vgpr)
	.set _ZL18flash_attn_ext_f16ILi64ELi64ELi8ELi1ELb1ELb0EEvPKcS1_S1_S1_S1_PKiPfP15HIP_vector_typeIfLj2EEffffjfiS5_IjLj3EEiiiiiiiiiiiliiliiiiil.num_agpr, max(0, .L_ZL14no_device_codePKciS0_iS0_.num_agpr)
	.set _ZL18flash_attn_ext_f16ILi64ELi64ELi8ELi1ELb1ELb0EEvPKcS1_S1_S1_S1_PKiPfP15HIP_vector_typeIfLj2EEffffjfiS5_IjLj3EEiiiiiiiiiiiliiliiiiil.numbered_sgpr, max(33, .L_ZL14no_device_codePKciS0_iS0_.numbered_sgpr)
	.set _ZL18flash_attn_ext_f16ILi64ELi64ELi8ELi1ELb1ELb0EEvPKcS1_S1_S1_S1_PKiPfP15HIP_vector_typeIfLj2EEffffjfiS5_IjLj3EEiiiiiiiiiiiliiliiiiil.num_named_barrier, max(0, .L_ZL14no_device_codePKciS0_iS0_.num_named_barrier)
	.set _ZL18flash_attn_ext_f16ILi64ELi64ELi8ELi1ELb1ELb0EEvPKcS1_S1_S1_S1_PKiPfP15HIP_vector_typeIfLj2EEffffjfiS5_IjLj3EEiiiiiiiiiiiliiliiiiil.private_seg_size, 0+max(.L_ZL14no_device_codePKciS0_iS0_.private_seg_size)
	.set _ZL18flash_attn_ext_f16ILi64ELi64ELi8ELi1ELb1ELb0EEvPKcS1_S1_S1_S1_PKiPfP15HIP_vector_typeIfLj2EEffffjfiS5_IjLj3EEiiiiiiiiiiiliiliiiiil.uses_vcc, or(1, .L_ZL14no_device_codePKciS0_iS0_.uses_vcc)
	.set _ZL18flash_attn_ext_f16ILi64ELi64ELi8ELi1ELb1ELb0EEvPKcS1_S1_S1_S1_PKiPfP15HIP_vector_typeIfLj2EEffffjfiS5_IjLj3EEiiiiiiiiiiiliiliiiiil.uses_flat_scratch, or(0, .L_ZL14no_device_codePKciS0_iS0_.uses_flat_scratch)
	.set _ZL18flash_attn_ext_f16ILi64ELi64ELi8ELi1ELb1ELb0EEvPKcS1_S1_S1_S1_PKiPfP15HIP_vector_typeIfLj2EEffffjfiS5_IjLj3EEiiiiiiiiiiiliiliiiiil.has_dyn_sized_stack, or(0, .L_ZL14no_device_codePKciS0_iS0_.has_dyn_sized_stack)
	.set _ZL18flash_attn_ext_f16ILi64ELi64ELi8ELi1ELb1ELb0EEvPKcS1_S1_S1_S1_PKiPfP15HIP_vector_typeIfLj2EEffffjfiS5_IjLj3EEiiiiiiiiiiiliiliiiiil.has_recursion, or(0, .L_ZL14no_device_codePKciS0_iS0_.has_recursion)
	.set _ZL18flash_attn_ext_f16ILi64ELi64ELi8ELi1ELb1ELb0EEvPKcS1_S1_S1_S1_PKiPfP15HIP_vector_typeIfLj2EEffffjfiS5_IjLj3EEiiiiiiiiiiiliiliiiiil.has_indirect_call, or(0, .L_ZL14no_device_codePKciS0_iS0_.has_indirect_call)
	.section	.AMDGPU.csdata,"",@progbits
; Kernel info:
; codeLenInByte = 48
; TotalNumSgprs: 36
; NumVgprs: 40
; ScratchSize: 16
; MemoryBound: 0
; FloatMode: 240
; IeeeMode: 1
; LDSByteSize: 0 bytes/workgroup (compile time only)
; SGPRBlocks: 0
; VGPRBlocks: 4
; NumSGPRsForWavesPerEU: 36
; NumVGPRsForWavesPerEU: 40
; Occupancy: 16
; WaveLimiterHint : 1
; COMPUTE_PGM_RSRC2:SCRATCH_EN: 1
; COMPUTE_PGM_RSRC2:USER_SGPR: 6
; COMPUTE_PGM_RSRC2:TRAP_HANDLER: 0
; COMPUTE_PGM_RSRC2:TGID_X_EN: 1
; COMPUTE_PGM_RSRC2:TGID_Y_EN: 0
; COMPUTE_PGM_RSRC2:TGID_Z_EN: 0
; COMPUTE_PGM_RSRC2:TIDIG_COMP_CNT: 0
	.section	.text._ZL25flash_attn_mask_to_KV_maxILi8EEvPK7__half2Piiii,"axG",@progbits,_ZL25flash_attn_mask_to_KV_maxILi8EEvPK7__half2Piiii,comdat
	.globl	_ZL25flash_attn_mask_to_KV_maxILi8EEvPK7__half2Piiii ; -- Begin function _ZL25flash_attn_mask_to_KV_maxILi8EEvPK7__half2Piiii
	.p2align	8
	.type	_ZL25flash_attn_mask_to_KV_maxILi8EEvPK7__half2Piiii,@function
_ZL25flash_attn_mask_to_KV_maxILi8EEvPK7__half2Piiii: ; @_ZL25flash_attn_mask_to_KV_maxILi8EEvPK7__half2Piiii
; %bb.0:
	s_load_dwordx4 s[8:11], s[4:5], 0x0
	s_mov_b32 s0, exec_lo
	v_cmpx_gt_u32_e32 32, v0
; %bb.1:
	v_lshlrev_b32_e32 v1, 2, v0
	v_mov_b32_e32 v2, 1
	ds_write_b32 v1, v2
; %bb.2:
	s_or_b32 exec_lo, exec_lo, s0
	s_clause 0x1
	s_load_dwordx4 s[12:15], s[4:5], 0x10
	s_load_dword s1, s[4:5], 0x20
	v_and_b32_e32 v1, 31, v0
	v_lshrrev_b32_e32 v5, 3, v0
	v_mov_b32_e32 v2, 0
	v_mov_b32_e32 v6, 0x204
	s_waitcnt lgkmcnt(0)
	v_lshlrev_b32_e32 v7, 2, v1
	s_barrier
	buffer_gl0_inv
	s_mul_i32 s0, s6, s13
	s_mul_i32 s2, s14, s7
	s_lshl_b32 s0, s0, 3
	s_add_i32 s2, s2, s0
	v_cmp_eq_u32_e64 s0, 0, v1
	s_ashr_i32 s3, s2, 31
	s_lshl_b64 s[4:5], s[2:3], 2
	s_add_u32 s3, s8, s4
	s_addc_u32 s4, s9, s5
	s_lshl_b32 s5, s12, 8
	s_branch .LBB5_4
.LBB5_3:                                ;   in Loop: Header=BB5_4 Depth=1
	s_or_b32 exec_lo, exec_lo, s8
	s_waitcnt lgkmcnt(0)
	s_barrier
	buffer_gl0_inv
	ds_read_b32 v1, v7
	s_waitcnt lgkmcnt(0)
	s_barrier
	buffer_gl0_inv
	v_cmp_ne_u32_e32 vcc_lo, 0, v1
	s_cmp_lg_u32 vcc_lo, exec_lo
	s_cselect_b32 s8, -1, 0
	s_and_b32 vcc_lo, exec_lo, s8
	s_cbranch_vccnz .LBB5_36
.LBB5_4:                                ; =>This Inner Loop Header: Depth=1
	s_mov_b32 s2, s5
	s_addk_i32 s5, 0xff00
	s_cmp_lt_i32 s5, 0
	s_cbranch_scc1 .LBB5_35
; %bb.5:                                ;   in Loop: Header=BB5_4 Depth=1
	s_lshr_b32 s8, s5, 1
	v_add_nc_u32_e32 v1, s8, v0
	v_lshlrev_b64 v[3:4], 2, v[1:2]
	v_add_co_u32 v3, vcc_lo, s3, v3
	v_add_co_ci_u32_e64 v4, null, s4, v4, vcc_lo
	global_load_dword v3, v[3:4], off
	s_waitcnt vmcnt(0)
	v_cmp_class_f16_e64 s8, v3, 0x204
	v_cmp_class_f16_sdwa s9, v3, v6 src0_sel:WORD_1 src1_sel:DWORD
	s_and_b32 s12, s8, s9
	s_mov_b32 s9, 0
	s_and_saveexec_b32 s8, s12
	s_cbranch_execz .LBB5_33
; %bb.6:                                ;   in Loop: Header=BB5_4 Depth=1
	v_add_nc_u32_e32 v3, s13, v1
	s_mov_b32 s12, 0
	v_ashrrev_i32_e32 v4, 31, v3
	v_lshlrev_b64 v[8:9], 2, v[3:4]
	v_add_co_u32 v8, vcc_lo, s3, v8
	v_add_co_ci_u32_e64 v9, null, s4, v9, vcc_lo
	global_load_dword v1, v[8:9], off
	s_waitcnt vmcnt(0)
	v_cmp_class_f16_e64 s14, v1, 0x204
	s_and_saveexec_b32 s9, s14
	s_cbranch_execz .LBB5_32
; %bb.7:                                ;   in Loop: Header=BB5_4 Depth=1
	v_cmp_class_f16_sdwa s15, v1, v6 src0_sel:WORD_1 src1_sel:DWORD
	s_mov_b32 s14, 0
	s_and_saveexec_b32 s12, s15
	s_cbranch_execz .LBB5_31
; %bb.8:                                ;   in Loop: Header=BB5_4 Depth=1
	v_add_nc_u32_e32 v3, s13, v3
	s_mov_b32 s15, 0
	v_ashrrev_i32_e32 v4, 31, v3
	v_lshlrev_b64 v[8:9], 2, v[3:4]
	v_add_co_u32 v8, vcc_lo, s3, v8
	v_add_co_ci_u32_e64 v9, null, s4, v9, vcc_lo
	global_load_dword v1, v[8:9], off
	s_waitcnt vmcnt(0)
	v_cmp_class_f16_e64 s16, v1, 0x204
	s_and_saveexec_b32 s14, s16
	s_cbranch_execz .LBB5_30
; %bb.9:                                ;   in Loop: Header=BB5_4 Depth=1
	v_cmp_class_f16_sdwa s17, v1, v6 src0_sel:WORD_1 src1_sel:DWORD
	s_mov_b32 s16, 0
	s_and_saveexec_b32 s15, s17
	s_cbranch_execz .LBB5_29
; %bb.10:                               ;   in Loop: Header=BB5_4 Depth=1
	v_add_nc_u32_e32 v3, s13, v3
	s_mov_b32 s17, 0
	v_ashrrev_i32_e32 v4, 31, v3
	v_lshlrev_b64 v[8:9], 2, v[3:4]
	v_add_co_u32 v8, vcc_lo, s3, v8
	v_add_co_ci_u32_e64 v9, null, s4, v9, vcc_lo
	global_load_dword v1, v[8:9], off
	s_waitcnt vmcnt(0)
	v_cmp_class_f16_e64 s18, v1, 0x204
	s_and_saveexec_b32 s16, s18
	s_cbranch_execz .LBB5_28
; %bb.11:                               ;   in Loop: Header=BB5_4 Depth=1
	v_cmp_class_f16_sdwa s19, v1, v6 src0_sel:WORD_1 src1_sel:DWORD
	s_mov_b32 s18, 0
	s_and_saveexec_b32 s17, s19
	s_cbranch_execz .LBB5_27
; %bb.12:                               ;   in Loop: Header=BB5_4 Depth=1
	v_add_nc_u32_e32 v3, s13, v3
	s_mov_b32 s19, 0
	v_ashrrev_i32_e32 v4, 31, v3
	v_lshlrev_b64 v[8:9], 2, v[3:4]
	v_add_co_u32 v8, vcc_lo, s3, v8
	v_add_co_ci_u32_e64 v9, null, s4, v9, vcc_lo
	global_load_dword v1, v[8:9], off
	s_waitcnt vmcnt(0)
	v_cmp_class_f16_e64 s20, v1, 0x204
	s_and_saveexec_b32 s18, s20
	s_cbranch_execz .LBB5_26
; %bb.13:                               ;   in Loop: Header=BB5_4 Depth=1
	;; [unrolled: 17-line block ×4, first 2 shown]
	v_cmp_class_f16_sdwa s25, v1, v6 src0_sel:WORD_1 src1_sel:DWORD
	s_mov_b32 s24, 0
	s_and_saveexec_b32 s23, s25
	s_cbranch_execz .LBB5_21
; %bb.18:                               ;   in Loop: Header=BB5_4 Depth=1
	v_add_nc_u32_e32 v3, s13, v3
	v_ashrrev_i32_e32 v4, 31, v3
	v_lshlrev_b64 v[3:4], 2, v[3:4]
	v_add_co_u32 v3, vcc_lo, s3, v3
	v_add_co_ci_u32_e64 v4, null, s4, v4, vcc_lo
	global_load_dword v1, v[3:4], off
	s_waitcnt vmcnt(0)
	v_cmp_class_f16_e64 s26, v1, 0x204
	s_and_saveexec_b32 s25, s26
; %bb.19:                               ;   in Loop: Header=BB5_4 Depth=1
	v_cmp_class_f16_sdwa s24, v1, v6 src0_sel:WORD_1 src1_sel:DWORD
	s_and_b32 s24, s24, exec_lo
; %bb.20:                               ;   in Loop: Header=BB5_4 Depth=1
	s_or_b32 exec_lo, exec_lo, s25
	s_and_b32 s24, s24, exec_lo
.LBB5_21:                               ;   in Loop: Header=BB5_4 Depth=1
	s_or_b32 exec_lo, exec_lo, s23
	s_and_b32 s23, s24, exec_lo
.LBB5_22:                               ;   in Loop: Header=BB5_4 Depth=1
	s_or_b32 exec_lo, exec_lo, s22
	s_and_b32 s22, s23, exec_lo
.LBB5_23:                               ;   in Loop: Header=BB5_4 Depth=1
	s_or_b32 exec_lo, exec_lo, s21
	s_and_b32 s21, s22, exec_lo
.LBB5_24:                               ;   in Loop: Header=BB5_4 Depth=1
	s_or_b32 exec_lo, exec_lo, s20
	s_and_b32 s20, s21, exec_lo
.LBB5_25:                               ;   in Loop: Header=BB5_4 Depth=1
	s_or_b32 exec_lo, exec_lo, s19
	s_and_b32 s19, s20, exec_lo
.LBB5_26:                               ;   in Loop: Header=BB5_4 Depth=1
	s_or_b32 exec_lo, exec_lo, s18
	s_and_b32 s18, s19, exec_lo
.LBB5_27:                               ;   in Loop: Header=BB5_4 Depth=1
	s_or_b32 exec_lo, exec_lo, s17
	s_and_b32 s17, s18, exec_lo
.LBB5_28:                               ;   in Loop: Header=BB5_4 Depth=1
	s_or_b32 exec_lo, exec_lo, s16
	s_and_b32 s16, s17, exec_lo
.LBB5_29:                               ;   in Loop: Header=BB5_4 Depth=1
	s_or_b32 exec_lo, exec_lo, s15
	s_and_b32 s15, s16, exec_lo
.LBB5_30:                               ;   in Loop: Header=BB5_4 Depth=1
	s_or_b32 exec_lo, exec_lo, s14
	s_and_b32 s14, s15, exec_lo
.LBB5_31:                               ;   in Loop: Header=BB5_4 Depth=1
	s_or_b32 exec_lo, exec_lo, s12
	s_and_b32 s12, s14, exec_lo
.LBB5_32:                               ;   in Loop: Header=BB5_4 Depth=1
	s_or_b32 exec_lo, exec_lo, s9
	s_and_b32 s9, s12, exec_lo
.LBB5_33:                               ;   in Loop: Header=BB5_4 Depth=1
	s_or_b32 exec_lo, exec_lo, s8
	v_cndmask_b32_e64 v1, 0, 1, s9
	s_mov_b32 s12, exec_lo
	v_cmp_ne_u32_e32 vcc_lo, 0, v1
	s_and_saveexec_b32 s8, s0
	s_cbranch_execz .LBB5_3
; %bb.34:                               ;   in Loop: Header=BB5_4 Depth=1
	s_cmp_eq_u32 vcc_lo, s12
	s_cselect_b32 s9, -1, 0
	v_cndmask_b32_e64 v1, 0, 1, s9
	ds_write_b32 v5, v1
	s_branch .LBB5_3
.LBB5_35:                               ;   in Loop: Header=BB5_4 Depth=1
	s_cbranch_execz .LBB5_4
.LBB5_36:
	s_mov_b32 s0, exec_lo
	v_cmpx_eq_u32_e32 0, v0
	s_cbranch_execz .LBB5_38
; %bb.37:
	s_mul_i32 s0, s1, s7
	v_mov_b32_e32 v0, 0
	s_add_i32 s0, s0, s6
	v_mov_b32_e32 v1, s2
	s_ashr_i32 s1, s0, 31
	s_lshl_b64 s[0:1], s[0:1], 2
	s_add_u32 s0, s10, s0
	s_addc_u32 s1, s11, s1
	global_store_dword v0, v1, s[0:1]
.LBB5_38:
	s_endpgm
	.section	.rodata,"a",@progbits
	.p2align	6, 0x0
	.amdhsa_kernel _ZL25flash_attn_mask_to_KV_maxILi8EEvPK7__half2Piiii
		.amdhsa_group_segment_fixed_size 128
		.amdhsa_private_segment_fixed_size 0
		.amdhsa_kernarg_size 288
		.amdhsa_user_sgpr_count 6
		.amdhsa_user_sgpr_private_segment_buffer 1
		.amdhsa_user_sgpr_dispatch_ptr 0
		.amdhsa_user_sgpr_queue_ptr 0
		.amdhsa_user_sgpr_kernarg_segment_ptr 1
		.amdhsa_user_sgpr_dispatch_id 0
		.amdhsa_user_sgpr_flat_scratch_init 0
		.amdhsa_user_sgpr_private_segment_size 0
		.amdhsa_wavefront_size32 1
		.amdhsa_uses_dynamic_stack 0
		.amdhsa_system_sgpr_private_segment_wavefront_offset 0
		.amdhsa_system_sgpr_workgroup_id_x 1
		.amdhsa_system_sgpr_workgroup_id_y 1
		.amdhsa_system_sgpr_workgroup_id_z 0
		.amdhsa_system_sgpr_workgroup_info 0
		.amdhsa_system_vgpr_workitem_id 0
		.amdhsa_next_free_vgpr 10
		.amdhsa_next_free_sgpr 27
		.amdhsa_reserve_vcc 1
		.amdhsa_reserve_flat_scratch 0
		.amdhsa_float_round_mode_32 0
		.amdhsa_float_round_mode_16_64 0
		.amdhsa_float_denorm_mode_32 3
		.amdhsa_float_denorm_mode_16_64 3
		.amdhsa_dx10_clamp 1
		.amdhsa_ieee_mode 1
		.amdhsa_fp16_overflow 0
		.amdhsa_workgroup_processor_mode 1
		.amdhsa_memory_ordered 1
		.amdhsa_forward_progress 1
		.amdhsa_shared_vgpr_count 0
		.amdhsa_exception_fp_ieee_invalid_op 0
		.amdhsa_exception_fp_denorm_src 0
		.amdhsa_exception_fp_ieee_div_zero 0
		.amdhsa_exception_fp_ieee_overflow 0
		.amdhsa_exception_fp_ieee_underflow 0
		.amdhsa_exception_fp_ieee_inexact 0
		.amdhsa_exception_int_div_zero 0
	.end_amdhsa_kernel
	.section	.text._ZL25flash_attn_mask_to_KV_maxILi8EEvPK7__half2Piiii,"axG",@progbits,_ZL25flash_attn_mask_to_KV_maxILi8EEvPK7__half2Piiii,comdat
.Lfunc_end5:
	.size	_ZL25flash_attn_mask_to_KV_maxILi8EEvPK7__half2Piiii, .Lfunc_end5-_ZL25flash_attn_mask_to_KV_maxILi8EEvPK7__half2Piiii
                                        ; -- End function
	.set _ZL25flash_attn_mask_to_KV_maxILi8EEvPK7__half2Piiii.num_vgpr, 10
	.set _ZL25flash_attn_mask_to_KV_maxILi8EEvPK7__half2Piiii.num_agpr, 0
	.set _ZL25flash_attn_mask_to_KV_maxILi8EEvPK7__half2Piiii.numbered_sgpr, 27
	.set _ZL25flash_attn_mask_to_KV_maxILi8EEvPK7__half2Piiii.num_named_barrier, 0
	.set _ZL25flash_attn_mask_to_KV_maxILi8EEvPK7__half2Piiii.private_seg_size, 0
	.set _ZL25flash_attn_mask_to_KV_maxILi8EEvPK7__half2Piiii.uses_vcc, 1
	.set _ZL25flash_attn_mask_to_KV_maxILi8EEvPK7__half2Piiii.uses_flat_scratch, 0
	.set _ZL25flash_attn_mask_to_KV_maxILi8EEvPK7__half2Piiii.has_dyn_sized_stack, 0
	.set _ZL25flash_attn_mask_to_KV_maxILi8EEvPK7__half2Piiii.has_recursion, 0
	.set _ZL25flash_attn_mask_to_KV_maxILi8EEvPK7__half2Piiii.has_indirect_call, 0
	.section	.AMDGPU.csdata,"",@progbits
; Kernel info:
; codeLenInByte = 1124
; TotalNumSgprs: 29
; NumVgprs: 10
; ScratchSize: 0
; MemoryBound: 0
; FloatMode: 240
; IeeeMode: 1
; LDSByteSize: 128 bytes/workgroup (compile time only)
; SGPRBlocks: 0
; VGPRBlocks: 1
; NumSGPRsForWavesPerEU: 29
; NumVGPRsForWavesPerEU: 10
; Occupancy: 16
; WaveLimiterHint : 0
; COMPUTE_PGM_RSRC2:SCRATCH_EN: 0
; COMPUTE_PGM_RSRC2:USER_SGPR: 6
; COMPUTE_PGM_RSRC2:TRAP_HANDLER: 0
; COMPUTE_PGM_RSRC2:TGID_X_EN: 1
; COMPUTE_PGM_RSRC2:TGID_Y_EN: 1
; COMPUTE_PGM_RSRC2:TGID_Z_EN: 0
; COMPUTE_PGM_RSRC2:TIDIG_COMP_CNT: 0
	.section	.text._ZL33flash_attn_stream_k_fixup_uniformILi64ELi8ELi1EEvPfPK15HIP_vector_typeIfLj2EEiiiiiiS1_IjLj3EES5_S5_,"axG",@progbits,_ZL33flash_attn_stream_k_fixup_uniformILi64ELi8ELi1EEvPfPK15HIP_vector_typeIfLj2EEiiiiiiS1_IjLj3EES5_S5_,comdat
	.globl	_ZL33flash_attn_stream_k_fixup_uniformILi64ELi8ELi1EEvPfPK15HIP_vector_typeIfLj2EEiiiiiiS1_IjLj3EES5_S5_ ; -- Begin function _ZL33flash_attn_stream_k_fixup_uniformILi64ELi8ELi1EEvPfPK15HIP_vector_typeIfLj2EEiiiiiiS1_IjLj3EES5_S5_
	.p2align	8
	.type	_ZL33flash_attn_stream_k_fixup_uniformILi64ELi8ELi1EEvPfPK15HIP_vector_typeIfLj2EEiiiiiiS1_IjLj3EES5_S5_,@function
_ZL33flash_attn_stream_k_fixup_uniformILi64ELi8ELi1EEvPfPK15HIP_vector_typeIfLj2EEiiiiiiS1_IjLj3EES5_S5_: ; @_ZL33flash_attn_stream_k_fixup_uniformILi64ELi8ELi1EEvPfPK15HIP_vector_typeIfLj2EEiiiiiiS1_IjLj3EES5_S5_
; %bb.0:
	s_clause 0x2
	s_load_dwordx8 s[12:19], s[4:5], 0x1c
	s_load_dwordx4 s[20:23], s[4:5], 0x3c
	s_load_dwordx2 s[10:11], s[4:5], 0x10
	s_waitcnt lgkmcnt(0)
	s_mul_hi_u32 s0, s15, s6
	s_add_i32 s0, s6, s0
	s_lshr_b32 s0, s0, s16
	s_mul_i32 s1, s0, s17
	s_sub_i32 s2, s6, s1
	s_mul_hi_u32 s1, s2, s18
	s_add_i32 s1, s2, s1
	s_lshr_b32 s1, s1, s19
	s_mul_i32 s3, s1, s20
	s_sub_i32 s2, s2, s3
	;; [unrolled: 5-line block ×3, first 2 shown]
	s_lshl_b32 s2, s15, 3
	s_add_i32 s2, s2, s7
	s_cmp_lt_i32 s2, s10
	s_cselect_b32 s2, -1, 0
	s_add_i32 s3, s9, s8
	s_cmp_lt_i32 s3, s13
	s_cselect_b32 s3, -1, 0
	s_and_b32 s2, s2, s3
	s_andn2_b32 vcc_lo, exec_lo, s2
	s_cbranch_vccnz .LBB6_6
; %bb.1:
	s_mul_i32 s0, s0, s10
	s_mul_i32 s10, s1, s13
	s_add_i32 s0, s0, s7
	s_mul_i32 s0, s0, s11
	s_add_i32 s13, s0, s8
	s_load_dwordx4 s[0:3], s[4:5], 0x0
	s_add_i32 s4, s13, s10
	s_mul_i32 s5, s11, s15
	s_add_i32 s4, s4, s9
	s_lshl_b32 s5, s5, 9
	s_lshl_b32 s4, s4, 6
	s_add_i32 s8, s7, s8
	s_add_i32 s5, s5, s4
	s_mul_i32 s4, s14, s6
	v_or_b32_e32 v1, s5, v0
	s_add_i32 s9, s4, s14
	v_ashrrev_i32_e32 v2, 31, v1
	v_lshlrev_b64 v[1:2], 2, v[1:2]
	s_waitcnt lgkmcnt(0)
	v_add_co_u32 v1, vcc_lo, s0, v1
	v_add_co_ci_u32_e64 v2, null, s1, v2, vcc_lo
	s_lshl_b32 s0, s9, 3
	s_add_i32 s0, s8, s0
	global_load_dword v5, v[1:2], off
	s_add_i32 s0, s0, -8
	s_ashr_i32 s1, s0, 31
	s_lshl_b64 s[0:1], s[0:1], 3
	s_add_u32 s0, s2, s0
	s_addc_u32 s1, s3, s1
	s_add_i32 s5, s9, -2
	s_load_dword s10, s[0:1], 0x4
	s_cmp_lt_i32 s5, s4
	s_cbranch_scc1 .LBB6_4
; %bb.2:
	s_lshl_b32 s16, s12, 5
	s_load_dword s11, s[0:1], 0x0
	s_ashr_i32 s17, s16, 31
	s_waitcnt lgkmcnt(0)
	v_mov_b32_e32 v6, s10
	s_lshl_b64 s[0:1], s[16:17], 2
	s_add_u32 s5, s2, s0
	s_addc_u32 s7, s3, s1
	s_add_i32 s6, s6, 1
	s_lshl_b32 s1, s8, 6
	s_mul_i32 s0, s14, s6
	s_lshl_b32 s6, s0, 9
	s_lshl_b32 s0, s0, 3
	s_add_i32 s1, s1, s6
	s_add_i32 s0, s8, s0
	v_or_b32_e32 v0, s1, v0
	s_lshl_b32 s1, s12, 3
	s_add_i32 s6, s9, -1
	s_add_i32 s0, s0, s1
	v_add_nc_u32_e32 v3, 0xfffffc00, v0
	v_mov_b32_e32 v0, s11
	s_add_i32 s0, s0, -16
.LBB6_3:                                ; =>This Inner Loop Header: Depth=1
	v_ashrrev_i32_e32 v4, 31, v3
	s_ashr_i32 s1, s0, 31
	s_lshl_b64 s[8:9], s[0:1], 3
	s_add_u32 s8, s2, s8
	v_lshlrev_b64 v[7:8], 2, v[3:4]
	s_addc_u32 s9, s3, s9
	v_add_nc_u32_e32 v3, 0xfffffe00, v3
	s_add_i32 s6, s6, -1
	s_add_i32 s0, s0, -8
	s_cmp_le_i32 s6, s4
	v_add_co_u32 v7, vcc_lo, s5, v7
	v_add_co_ci_u32_e64 v8, null, s7, v8, vcc_lo
	s_load_dwordx2 s[8:9], s[8:9], 0x0
	global_load_dword v4, v[7:8], off
	v_max_f32_e32 v7, v0, v0
	s_waitcnt lgkmcnt(0)
	v_max_f32_e64 v8, s8, s8
	v_max_f32_e32 v7, v7, v8
	v_sub_f32_e32 v8, s8, v7
	v_sub_f32_e32 v0, v0, v7
	v_mul_f32_e32 v9, 0x3fb8aa3b, v8
	v_mul_f32_e32 v12, 0x3fb8aa3b, v0
	v_cmp_ngt_f32_e32 vcc_lo, 0xc2ce8ed0, v8
	v_fma_f32 v10, 0x3fb8aa3b, v8, -v9
	v_rndne_f32_e32 v11, v9
	v_fma_f32 v13, 0x3fb8aa3b, v0, -v12
	v_rndne_f32_e32 v14, v12
	v_fmac_f32_e32 v10, 0x32a5705f, v8
	v_sub_f32_e32 v9, v9, v11
	v_fmac_f32_e32 v13, 0x32a5705f, v0
	v_cvt_i32_f32_e32 v11, v11
	v_add_f32_e32 v9, v9, v10
	v_sub_f32_e32 v10, v12, v14
	v_exp_f32_e32 v9, v9
	v_add_f32_e32 v10, v10, v13
	v_exp_f32_e32 v10, v10
	v_ldexp_f32 v9, v9, v11
	v_cvt_i32_f32_e32 v11, v14
	v_cndmask_b32_e32 v9, 0, v9, vcc_lo
	v_cmp_nlt_f32_e32 vcc_lo, 0x42b17218, v8
	v_ldexp_f32 v10, v10, v11
	v_mov_b32_e32 v11, v6
	v_cndmask_b32_e32 v9, 0x7f800000, v9, vcc_lo
	v_cmp_ngt_f32_e32 vcc_lo, 0xc2ce8ed0, v0
	v_cndmask_b32_e32 v10, 0, v10, vcc_lo
	v_cmp_le_f32_e32 vcc_lo, 0xc1a00000, v8
	v_cndmask_b32_e32 v8, 0, v9, vcc_lo
	v_cmp_nlt_f32_e32 vcc_lo, 0x42b17218, v0
	s_waitcnt vmcnt(1)
	v_mov_b32_e32 v9, v5
	v_cndmask_b32_e32 v5, 0x7f800000, v10, vcc_lo
	v_mul_f32_e32 v10, s9, v8
	v_cmp_le_f32_e32 vcc_lo, 0xc1a00000, v0
	v_mov_b32_e32 v0, v7
	v_mov_b32_e32 v6, v10
	v_cndmask_b32_e32 v12, 0, v5, vcc_lo
	v_fmac_f32_e32 v6, v11, v12
	s_waitcnt vmcnt(0)
	v_mul_f32_e32 v5, v4, v8
	v_fmac_f32_e32 v5, v9, v12
	s_cbranch_scc0 .LBB6_3
	s_branch .LBB6_5
.LBB6_4:
	s_waitcnt lgkmcnt(0)
	v_mov_b32_e32 v6, s10
.LBB6_5:
	s_waitcnt vmcnt(0)
	v_div_scale_f32 v0, null, v6, v6, v5
	v_rcp_f32_e32 v3, v0
	v_fma_f32 v4, -v0, v3, 1.0
	v_fmac_f32_e32 v3, v4, v3
	v_div_scale_f32 v4, vcc_lo, v5, v6, v5
	v_mul_f32_e32 v7, v4, v3
	v_fma_f32 v8, -v0, v7, v4
	v_fmac_f32_e32 v7, v8, v3
	v_fma_f32 v0, -v0, v7, v4
	v_div_fmas_f32 v0, v0, v3, v7
	v_div_fixup_f32 v0, v0, v6, v5
	global_store_dword v[1:2], v0, off
.LBB6_6:
	s_endpgm
	.section	.rodata,"a",@progbits
	.p2align	6, 0x0
	.amdhsa_kernel _ZL33flash_attn_stream_k_fixup_uniformILi64ELi8ELi1EEvPfPK15HIP_vector_typeIfLj2EEiiiiiiS1_IjLj3EES5_S5_
		.amdhsa_group_segment_fixed_size 0
		.amdhsa_private_segment_fixed_size 0
		.amdhsa_kernarg_size 76
		.amdhsa_user_sgpr_count 6
		.amdhsa_user_sgpr_private_segment_buffer 1
		.amdhsa_user_sgpr_dispatch_ptr 0
		.amdhsa_user_sgpr_queue_ptr 0
		.amdhsa_user_sgpr_kernarg_segment_ptr 1
		.amdhsa_user_sgpr_dispatch_id 0
		.amdhsa_user_sgpr_flat_scratch_init 0
		.amdhsa_user_sgpr_private_segment_size 0
		.amdhsa_wavefront_size32 1
		.amdhsa_uses_dynamic_stack 0
		.amdhsa_system_sgpr_private_segment_wavefront_offset 0
		.amdhsa_system_sgpr_workgroup_id_x 1
		.amdhsa_system_sgpr_workgroup_id_y 1
		.amdhsa_system_sgpr_workgroup_id_z 1
		.amdhsa_system_sgpr_workgroup_info 0
		.amdhsa_system_vgpr_workitem_id 0
		.amdhsa_next_free_vgpr 15
		.amdhsa_next_free_sgpr 24
		.amdhsa_reserve_vcc 1
		.amdhsa_reserve_flat_scratch 0
		.amdhsa_float_round_mode_32 0
		.amdhsa_float_round_mode_16_64 0
		.amdhsa_float_denorm_mode_32 3
		.amdhsa_float_denorm_mode_16_64 3
		.amdhsa_dx10_clamp 1
		.amdhsa_ieee_mode 1
		.amdhsa_fp16_overflow 0
		.amdhsa_workgroup_processor_mode 1
		.amdhsa_memory_ordered 1
		.amdhsa_forward_progress 1
		.amdhsa_shared_vgpr_count 0
		.amdhsa_exception_fp_ieee_invalid_op 0
		.amdhsa_exception_fp_denorm_src 0
		.amdhsa_exception_fp_ieee_div_zero 0
		.amdhsa_exception_fp_ieee_overflow 0
		.amdhsa_exception_fp_ieee_underflow 0
		.amdhsa_exception_fp_ieee_inexact 0
		.amdhsa_exception_int_div_zero 0
	.end_amdhsa_kernel
	.section	.text._ZL33flash_attn_stream_k_fixup_uniformILi64ELi8ELi1EEvPfPK15HIP_vector_typeIfLj2EEiiiiiiS1_IjLj3EES5_S5_,"axG",@progbits,_ZL33flash_attn_stream_k_fixup_uniformILi64ELi8ELi1EEvPfPK15HIP_vector_typeIfLj2EEiiiiiiS1_IjLj3EES5_S5_,comdat
.Lfunc_end6:
	.size	_ZL33flash_attn_stream_k_fixup_uniformILi64ELi8ELi1EEvPfPK15HIP_vector_typeIfLj2EEiiiiiiS1_IjLj3EES5_S5_, .Lfunc_end6-_ZL33flash_attn_stream_k_fixup_uniformILi64ELi8ELi1EEvPfPK15HIP_vector_typeIfLj2EEiiiiiiS1_IjLj3EES5_S5_
                                        ; -- End function
	.set _ZL33flash_attn_stream_k_fixup_uniformILi64ELi8ELi1EEvPfPK15HIP_vector_typeIfLj2EEiiiiiiS1_IjLj3EES5_S5_.num_vgpr, 15
	.set _ZL33flash_attn_stream_k_fixup_uniformILi64ELi8ELi1EEvPfPK15HIP_vector_typeIfLj2EEiiiiiiS1_IjLj3EES5_S5_.num_agpr, 0
	.set _ZL33flash_attn_stream_k_fixup_uniformILi64ELi8ELi1EEvPfPK15HIP_vector_typeIfLj2EEiiiiiiS1_IjLj3EES5_S5_.numbered_sgpr, 24
	.set _ZL33flash_attn_stream_k_fixup_uniformILi64ELi8ELi1EEvPfPK15HIP_vector_typeIfLj2EEiiiiiiS1_IjLj3EES5_S5_.num_named_barrier, 0
	.set _ZL33flash_attn_stream_k_fixup_uniformILi64ELi8ELi1EEvPfPK15HIP_vector_typeIfLj2EEiiiiiiS1_IjLj3EES5_S5_.private_seg_size, 0
	.set _ZL33flash_attn_stream_k_fixup_uniformILi64ELi8ELi1EEvPfPK15HIP_vector_typeIfLj2EEiiiiiiS1_IjLj3EES5_S5_.uses_vcc, 1
	.set _ZL33flash_attn_stream_k_fixup_uniformILi64ELi8ELi1EEvPfPK15HIP_vector_typeIfLj2EEiiiiiiS1_IjLj3EES5_S5_.uses_flat_scratch, 0
	.set _ZL33flash_attn_stream_k_fixup_uniformILi64ELi8ELi1EEvPfPK15HIP_vector_typeIfLj2EEiiiiiiS1_IjLj3EES5_S5_.has_dyn_sized_stack, 0
	.set _ZL33flash_attn_stream_k_fixup_uniformILi64ELi8ELi1EEvPfPK15HIP_vector_typeIfLj2EEiiiiiiS1_IjLj3EES5_S5_.has_recursion, 0
	.set _ZL33flash_attn_stream_k_fixup_uniformILi64ELi8ELi1EEvPfPK15HIP_vector_typeIfLj2EEiiiiiiS1_IjLj3EES5_S5_.has_indirect_call, 0
	.section	.AMDGPU.csdata,"",@progbits
; Kernel info:
; codeLenInByte = 828
; TotalNumSgprs: 26
; NumVgprs: 15
; ScratchSize: 0
; MemoryBound: 0
; FloatMode: 240
; IeeeMode: 1
; LDSByteSize: 0 bytes/workgroup (compile time only)
; SGPRBlocks: 0
; VGPRBlocks: 1
; NumSGPRsForWavesPerEU: 26
; NumVGPRsForWavesPerEU: 15
; Occupancy: 16
; WaveLimiterHint : 0
; COMPUTE_PGM_RSRC2:SCRATCH_EN: 0
; COMPUTE_PGM_RSRC2:USER_SGPR: 6
; COMPUTE_PGM_RSRC2:TRAP_HANDLER: 0
; COMPUTE_PGM_RSRC2:TGID_X_EN: 1
; COMPUTE_PGM_RSRC2:TGID_Y_EN: 1
; COMPUTE_PGM_RSRC2:TGID_Z_EN: 1
; COMPUTE_PGM_RSRC2:TIDIG_COMP_CNT: 0
	.section	.text._ZL33flash_attn_stream_k_fixup_generalILi64ELi8ELi1EEvPfPK15HIP_vector_typeIfLj2EEiiiiS1_IjLj3EES5_S5_S5_,"axG",@progbits,_ZL33flash_attn_stream_k_fixup_generalILi64ELi8ELi1EEvPfPK15HIP_vector_typeIfLj2EEiiiiS1_IjLj3EES5_S5_S5_,comdat
	.globl	_ZL33flash_attn_stream_k_fixup_generalILi64ELi8ELi1EEvPfPK15HIP_vector_typeIfLj2EEiiiiS1_IjLj3EES5_S5_S5_ ; -- Begin function _ZL33flash_attn_stream_k_fixup_generalILi64ELi8ELi1EEvPfPK15HIP_vector_typeIfLj2EEiiiiS1_IjLj3EES5_S5_S5_
	.p2align	8
	.type	_ZL33flash_attn_stream_k_fixup_generalILi64ELi8ELi1EEvPfPK15HIP_vector_typeIfLj2EEiiiiS1_IjLj3EES5_S5_S5_,@function
_ZL33flash_attn_stream_k_fixup_generalILi64ELi8ELi1EEvPfPK15HIP_vector_typeIfLj2EEiiiiS1_IjLj3EES5_S5_S5_: ; @_ZL33flash_attn_stream_k_fixup_generalILi64ELi8ELi1EEvPfPK15HIP_vector_typeIfLj2EEiiiiS1_IjLj3EES5_S5_S5_
; %bb.0:
	s_clause 0x1
	s_load_dwordx4 s[0:3], s[4:5], 0x10
	s_load_dword s9, s[4:5], 0x50
	s_mov_b32 s16, 0
	s_waitcnt lgkmcnt(0)
	s_mul_hi_i32 s17, s3, s6
	s_mul_i32 s18, s3, s6
	s_cmp_lg_u64 s[16:17], 0
	s_cbranch_scc0 .LBB7_21
; %bb.1:
	s_add_u32 s10, s9, 0
	s_addc_u32 s11, 0, 0
	s_xor_b64 s[10:11], s[10:11], 0
	v_cvt_f32_u32_e32 v1, s10
	v_cvt_f32_u32_e32 v2, s11
	s_sub_u32 s14, 0, s10
	s_subb_u32 s15, 0, s11
	v_fmamk_f32 v1, v2, 0x4f800000, v1
	v_rcp_f32_e32 v1, v1
	v_mul_f32_e32 v1, 0x5f7ffffc, v1
	v_mul_f32_e32 v2, 0x2f800000, v1
	v_trunc_f32_e32 v2, v2
	v_fmamk_f32 v1, v2, 0xcf800000, v1
	v_cvt_u32_f32_e32 v2, v2
	v_cvt_u32_f32_e32 v1, v1
	v_readfirstlane_b32 s12, v2
	v_readfirstlane_b32 s13, v1
	s_mul_i32 s19, s14, s12
	s_mul_hi_u32 s21, s14, s13
	s_mul_i32 s20, s15, s13
	s_add_i32 s19, s21, s19
	s_mul_i32 s22, s14, s13
	s_add_i32 s19, s19, s20
	s_mul_hi_u32 s21, s13, s22
	s_mul_i32 s24, s13, s19
	s_mul_hi_u32 s23, s12, s22
	s_mul_i32 s20, s12, s22
	s_mul_hi_u32 s22, s13, s19
	s_add_u32 s21, s21, s24
	s_addc_u32 s22, 0, s22
	s_mul_hi_u32 s25, s12, s19
	s_add_u32 s20, s21, s20
	s_mul_i32 s19, s12, s19
	s_addc_u32 s20, s22, s23
	s_addc_u32 s21, s25, 0
	s_add_u32 s19, s20, s19
	s_addc_u32 s20, 0, s21
	s_add_u32 s13, s13, s19
	s_cselect_b32 s19, -1, 0
	s_mul_hi_u32 s21, s14, s13
	s_cmp_lg_u32 s19, 0
	s_mul_i32 s19, s14, s13
	s_addc_u32 s12, s12, s20
	s_mul_i32 s15, s15, s13
	s_mul_i32 s14, s14, s12
	s_mul_hi_u32 s20, s13, s19
	s_add_i32 s14, s21, s14
	s_mul_hi_u32 s21, s12, s19
	s_add_i32 s14, s14, s15
	s_mul_i32 s15, s12, s19
	s_mul_i32 s23, s13, s14
	s_mul_hi_u32 s22, s13, s14
	s_add_u32 s20, s20, s23
	s_addc_u32 s22, 0, s22
	s_mul_hi_u32 s19, s12, s14
	s_add_u32 s15, s20, s15
	s_mul_i32 s14, s12, s14
	s_addc_u32 s15, s22, s21
	s_addc_u32 s19, s19, 0
	s_add_u32 s14, s15, s14
	s_addc_u32 s15, 0, s19
	s_add_u32 s19, s13, s14
	s_cselect_b32 s13, -1, 0
	s_cmp_lg_u32 s13, 0
	s_addc_u32 s20, s12, s15
	s_ashr_i32 s12, s17, 31
	s_add_u32 s14, s18, s12
	s_mov_b32 s13, s12
	s_addc_u32 s15, s17, s12
	s_xor_b64 s[14:15], s[14:15], s[12:13]
	s_mul_i32 s21, s14, s20
	s_mul_hi_u32 s22, s14, s19
	s_mul_hi_u32 s17, s14, s20
	;; [unrolled: 1-line block ×3, first 2 shown]
	s_mul_i32 s19, s15, s19
	s_add_u32 s21, s22, s21
	s_addc_u32 s17, 0, s17
	s_mul_hi_u32 s23, s15, s20
	s_add_u32 s19, s21, s19
	s_mul_i32 s20, s15, s20
	s_addc_u32 s17, s17, s24
	s_addc_u32 s19, s23, 0
	s_add_u32 s17, s17, s20
	s_addc_u32 s19, 0, s19
	s_mul_hi_u32 s20, s10, s17
	s_mul_i32 s21, s10, s19
	s_mul_i32 s22, s11, s17
	s_add_i32 s20, s20, s21
	s_mul_i32 s21, s10, s17
	s_add_i32 s20, s20, s22
	s_sub_i32 s22, s15, s20
	s_sub_u32 s14, s14, s21
	s_cselect_b32 s21, -1, 0
	s_cmp_lg_u32 s21, 0
	s_subb_u32 s22, s22, s11
	s_sub_u32 s23, s14, s10
	s_cselect_b32 s24, -1, 0
	s_cmp_lg_u32 s24, 0
	s_subb_u32 s22, s22, 0
	s_cmp_ge_u32 s22, s11
	s_cselect_b32 s24, -1, 0
	s_cmp_ge_u32 s23, s10
	s_cselect_b32 s23, -1, 0
	s_cmp_eq_u32 s22, s11
	s_cselect_b32 s22, s23, s24
	s_add_u32 s23, s17, 1
	s_addc_u32 s24, s19, 0
	s_add_u32 s25, s17, 2
	s_addc_u32 s26, s19, 0
	s_cmp_lg_u32 s22, 0
	s_cselect_b32 s22, s25, s23
	s_cselect_b32 s23, s26, s24
	s_cmp_lg_u32 s21, 0
	s_subb_u32 s15, s15, s20
	s_cmp_ge_u32 s15, s11
	s_cselect_b32 s20, -1, 0
	s_cmp_ge_u32 s14, s10
	s_cselect_b32 s10, -1, 0
	s_cmp_eq_u32 s15, s11
	s_cselect_b32 s10, s10, s20
	s_cmp_lg_u32 s10, 0
	s_cselect_b32 s11, s23, s19
	s_cselect_b32 s10, s22, s17
	s_xor_b64 s[12:13], s[12:13], 0
	s_xor_b64 s[10:11], s[10:11], s[12:13]
	s_sub_u32 s10, s10, s12
	s_load_dwordx4 s[12:15], s[4:5], 0x44
	s_andn2_b32 vcc_lo, exec_lo, s16
	s_cbranch_vccnz .LBB7_3
.LBB7_2:
	v_cvt_f32_u32_e32 v1, s9
	s_sub_i32 s11, 0, s9
	v_rcp_iflag_f32_e32 v1, v1
	v_mul_f32_e32 v1, 0x4f7ffffe, v1
	v_cvt_u32_f32_e32 v1, v1
	v_readfirstlane_b32 s10, v1
	s_mul_i32 s11, s11, s10
	s_mul_hi_u32 s11, s10, s11
	s_add_i32 s10, s10, s11
	s_mul_hi_u32 s10, s18, s10
	s_mul_i32 s11, s10, s9
	s_waitcnt lgkmcnt(0)
	s_add_i32 s15, s10, 1
	s_sub_i32 s11, s18, s11
	s_sub_i32 s16, s11, s9
	s_cmp_ge_u32 s11, s9
	s_cselect_b32 s10, s15, s10
	s_cselect_b32 s11, s16, s11
	s_add_i32 s15, s10, 1
	s_cmp_ge_u32 s11, s9
	s_cselect_b32 s10, s15, s10
.LBB7_3:
	s_add_i32 s11, s6, 1
	s_mov_b32 s16, 0
	s_mul_hi_i32 s17, s3, s11
	s_mul_i32 s11, s3, s11
	s_cmp_lg_u64 s[16:17], 0
	s_cbranch_scc0 .LBB7_22
; %bb.4:
	s_add_u32 s18, s9, 0
	s_addc_u32 s19, 0, 0
	s_xor_b64 s[18:19], s[18:19], 0
	v_cvt_f32_u32_e32 v1, s18
	v_cvt_f32_u32_e32 v2, s19
	s_sub_u32 s21, 0, s18
	s_subb_u32 s22, 0, s19
	v_fmamk_f32 v1, v2, 0x4f800000, v1
	v_rcp_f32_e32 v1, v1
	v_mul_f32_e32 v1, 0x5f7ffffc, v1
	v_mul_f32_e32 v2, 0x2f800000, v1
	v_trunc_f32_e32 v2, v2
	v_fmamk_f32 v1, v2, 0xcf800000, v1
	v_cvt_u32_f32_e32 v2, v2
	v_cvt_u32_f32_e32 v1, v1
	s_waitcnt lgkmcnt(0)
	v_readfirstlane_b32 s15, v2
	v_readfirstlane_b32 s20, v1
	s_mul_i32 s23, s21, s15
	s_mul_hi_u32 s25, s21, s20
	s_mul_i32 s24, s22, s20
	s_add_i32 s23, s25, s23
	s_mul_i32 s26, s21, s20
	s_add_i32 s23, s23, s24
	s_mul_hi_u32 s25, s20, s26
	s_mul_i32 s28, s20, s23
	s_mul_hi_u32 s27, s15, s26
	s_mul_i32 s24, s15, s26
	s_mul_hi_u32 s26, s20, s23
	s_add_u32 s25, s25, s28
	s_addc_u32 s26, 0, s26
	s_mul_hi_u32 s29, s15, s23
	s_add_u32 s24, s25, s24
	s_mul_i32 s23, s15, s23
	s_addc_u32 s24, s26, s27
	s_addc_u32 s25, s29, 0
	s_add_u32 s23, s24, s23
	s_addc_u32 s24, 0, s25
	s_add_u32 s20, s20, s23
	s_cselect_b32 s23, -1, 0
	s_mul_hi_u32 s25, s21, s20
	s_cmp_lg_u32 s23, 0
	s_mul_i32 s23, s21, s20
	s_addc_u32 s15, s15, s24
	s_mul_i32 s22, s22, s20
	s_mul_i32 s21, s21, s15
	s_mul_hi_u32 s24, s20, s23
	s_add_i32 s21, s25, s21
	s_mul_hi_u32 s25, s15, s23
	s_add_i32 s21, s21, s22
	s_mul_i32 s22, s15, s23
	s_mul_i32 s27, s20, s21
	s_mul_hi_u32 s26, s20, s21
	s_add_u32 s24, s24, s27
	s_addc_u32 s26, 0, s26
	s_mul_hi_u32 s23, s15, s21
	s_add_u32 s22, s24, s22
	s_mul_i32 s21, s15, s21
	s_addc_u32 s22, s26, s25
	s_addc_u32 s23, s23, 0
	s_add_u32 s21, s22, s21
	s_addc_u32 s22, 0, s23
	s_add_u32 s24, s20, s21
	s_cselect_b32 s20, -1, 0
	s_cmp_lg_u32 s20, 0
	s_addc_u32 s15, s15, s22
	s_ashr_i32 s20, s17, 31
	s_add_u32 s22, s11, s20
	s_mov_b32 s21, s20
	s_addc_u32 s23, s17, s20
	s_xor_b64 s[22:23], s[22:23], s[20:21]
	s_mul_i32 s25, s22, s15
	s_mul_hi_u32 s26, s22, s24
	s_mul_hi_u32 s17, s22, s15
	;; [unrolled: 1-line block ×3, first 2 shown]
	s_mul_i32 s24, s23, s24
	s_add_u32 s25, s26, s25
	s_addc_u32 s17, 0, s17
	s_mul_hi_u32 s27, s23, s15
	s_add_u32 s24, s25, s24
	s_mul_i32 s15, s23, s15
	s_addc_u32 s17, s17, s28
	s_addc_u32 s24, s27, 0
	s_add_u32 s15, s17, s15
	s_addc_u32 s17, 0, s24
	s_mul_hi_u32 s24, s18, s15
	s_mul_i32 s25, s18, s17
	s_mul_i32 s26, s19, s15
	s_add_i32 s24, s24, s25
	s_mul_i32 s25, s18, s15
	s_add_i32 s24, s24, s26
	s_sub_i32 s26, s23, s24
	s_sub_u32 s22, s22, s25
	s_cselect_b32 s25, -1, 0
	s_cmp_lg_u32 s25, 0
	s_subb_u32 s26, s26, s19
	s_sub_u32 s27, s22, s18
	s_cselect_b32 s28, -1, 0
	s_cmp_lg_u32 s28, 0
	s_subb_u32 s26, s26, 0
	s_cmp_ge_u32 s26, s19
	s_cselect_b32 s28, -1, 0
	s_cmp_ge_u32 s27, s18
	s_cselect_b32 s27, -1, 0
	s_cmp_eq_u32 s26, s19
	s_cselect_b32 s26, s27, s28
	s_add_u32 s27, s15, 1
	s_addc_u32 s28, s17, 0
	s_add_u32 s29, s15, 2
	s_addc_u32 s30, s17, 0
	s_cmp_lg_u32 s26, 0
	s_cselect_b32 s26, s29, s27
	s_cselect_b32 s27, s30, s28
	s_cmp_lg_u32 s25, 0
	s_subb_u32 s23, s23, s24
	s_cmp_ge_u32 s23, s19
	s_cselect_b32 s24, -1, 0
	s_cmp_ge_u32 s22, s18
	s_cselect_b32 s18, -1, 0
	s_cmp_eq_u32 s23, s19
	s_cselect_b32 s18, s18, s24
	s_cmp_lg_u32 s18, 0
	s_cselect_b32 s19, s27, s17
	s_cselect_b32 s18, s26, s15
	s_xor_b64 s[20:21], s[20:21], 0
	s_xor_b64 s[18:19], s[18:19], s[20:21]
	s_sub_u32 s18, s18, s20
	s_andn2_b32 vcc_lo, exec_lo, s16
	s_cbranch_vccnz .LBB7_6
.LBB7_5:
	v_cvt_f32_u32_e32 v1, s9
	s_sub_i32 s16, 0, s9
	v_rcp_iflag_f32_e32 v1, v1
	v_mul_f32_e32 v1, 0x4f7ffffe, v1
	v_cvt_u32_f32_e32 v1, v1
	s_waitcnt lgkmcnt(0)
	v_readfirstlane_b32 s15, v1
	s_mul_i32 s16, s16, s15
	s_mul_hi_u32 s16, s15, s16
	s_add_i32 s15, s15, s16
	s_mul_hi_u32 s15, s11, s15
	s_mul_i32 s16, s15, s9
	s_sub_i32 s11, s11, s16
	s_add_i32 s16, s15, 1
	s_sub_i32 s17, s11, s9
	s_cmp_ge_u32 s11, s9
	s_cselect_b32 s15, s16, s15
	s_cselect_b32 s11, s17, s11
	s_add_i32 s16, s15, 1
	s_cmp_ge_u32 s11, s9
	s_cselect_b32 s18, s16, s15
.LBB7_6:
	s_cmp_eq_u32 s10, s18
	s_waitcnt lgkmcnt(0)
	s_mul_hi_u32 s11, s10, s12
	s_cselect_b32 s15, -1, 0
	s_add_i32 s11, s11, s10
	s_lshr_b32 s11, s11, s13
	s_mul_i32 s16, s11, s14
	s_cmp_eq_u32 s16, s10
	s_mul_hi_u32 s16, s18, s12
	s_cselect_b32 s17, -1, 0
	s_add_i32 s16, s16, s18
	s_lshr_b32 s16, s16, s13
	s_cmp_eq_u32 s11, s16
	s_mul_i32 s16, s16, s14
	s_cselect_b32 s19, -1, 0
	s_cmp_lg_u32 s16, s18
	s_cselect_b32 s16, -1, 0
	s_or_b32 s15, s15, s17
	s_and_b32 s16, s19, s16
	s_or_b32 s15, s15, s16
	s_and_b32 vcc_lo, exec_lo, s15
	s_cbranch_vccnz .LBB7_24
; %bb.7:
	s_load_dwordx8 s[20:27], s[4:5], 0x20
	s_waitcnt lgkmcnt(0)
	s_mul_hi_u32 s15, s10, s20
	s_add_i32 s15, s15, s10
	s_lshr_b32 s20, s15, s21
	s_load_dword s15, s[4:5], 0x40
	s_mul_i32 s16, s20, s22
	s_sub_i32 s16, s10, s16
	s_mul_hi_u32 s17, s16, s23
	s_add_i32 s17, s16, s17
	s_lshr_b32 s22, s17, s24
	s_mul_i32 s17, s22, s25
	s_sub_i32 s16, s16, s17
	s_mul_hi_u32 s17, s16, s26
	s_add_i32 s17, s16, s17
	s_lshr_b32 s23, s17, s27
	s_waitcnt lgkmcnt(0)
	s_mul_i32 s15, s23, s15
	s_sub_i32 s15, s16, s15
	s_mul_hi_u32 s16, s15, s12
	s_add_i32 s15, s15, s16
	s_lshr_b32 s24, s15, s13
	s_lshl_b32 s15, s24, 3
	s_add_i32 s15, s15, s7
	s_cmp_lt_i32 s15, s0
	s_cselect_b32 s15, -1, 0
	s_add_i32 s16, s23, s8
	s_cmp_lt_i32 s16, s2
	s_cselect_b32 s16, -1, 0
	s_and_b32 s15, s15, s16
	s_andn2_b32 vcc_lo, exec_lo, s15
	s_cbranch_vccnz .LBB7_24
; %bb.8:
	s_load_dwordx4 s[16:19], s[4:5], 0x0
	s_mov_b32 s4, 0
	s_lshl_b32 s26, s9, 5
	s_mov_b32 s27, s4
	s_add_i32 s15, s7, s8
	s_lshl_b64 s[26:27], s[26:27], 2
	s_mul_i32 s0, s20, s0
	s_mul_i32 s22, s22, s2
	v_cvt_f32_u32_e32 v4, s9
	v_rcp_iflag_f32_e32 v4, v4
	s_waitcnt lgkmcnt(0)
	s_add_u32 s20, s18, s26
	s_addc_u32 s21, s19, s27
	s_add_i32 s0, s0, s7
	v_mul_f32_e32 v4, 0x4f7ffffe, v4
	s_mul_i32 s0, s0, s1
	s_mul_i32 s1, s1, s24
	s_add_i32 s0, s0, s8
	s_lshl_b32 s1, s1, 9
	s_add_i32 s0, s0, s22
	v_cvt_u32_f32_e32 v4, v4
	s_add_i32 s0, s0, s23
	s_lshl_b32 s0, s0, 6
	s_add_i32 s1, s1, s0
	s_lshl_b32 s0, s6, 3
	v_or_b32_e32 v1, s1, v0
	s_add_i32 s0, s0, s15
	v_lshl_or_b32 v0, s15, 6, v0
	s_ashr_i32 s1, s0, 31
	v_ashrrev_i32_e32 v2, 31, v1
	s_lshl_b64 s[0:1], s[0:1], 3
	s_add_u32 s0, s18, s0
	s_addc_u32 s1, s19, s1
	v_lshlrev_b64 v[1:2], 2, v[1:2]
	s_load_dwordx2 s[0:1], s[0:1], 0x0
	s_add_i32 s8, s6, -1
	s_sub_i32 s2, 0, s9
	v_add_co_u32 v1, vcc_lo, s16, v1
	v_add_co_ci_u32_e64 v2, null, s17, v2, vcc_lo
	global_load_dword v3, v[1:2], off
	s_waitcnt lgkmcnt(0)
	v_mov_b32_e32 v5, s1
	v_mov_b32_e32 v6, s0
.LBB7_9:                                ; =>This Inner Loop Header: Depth=1
	s_mul_hi_i32 s5, s8, s3
	s_mul_i32 s6, s8, s3
	s_cmp_lg_u64 s[4:5], 0
	s_mov_b32 s7, -1
                                        ; implicit-def: $sgpr0_sgpr1
	s_cbranch_scc0 .LBB7_11
; %bb.10:                               ;   in Loop: Header=BB7_9 Depth=1
	s_add_u32 s0, s9, 0
	s_addc_u32 s1, 0, 0
	s_xor_b64 s[0:1], s[0:1], 0
	v_cvt_f32_u32_e32 v7, s0
	v_cvt_f32_u32_e32 v8, s1
	s_sub_u32 s17, 0, s0
	s_subb_u32 s22, 0, s1
	v_fmac_f32_e32 v7, 0x4f800000, v8
	v_rcp_f32_e32 v7, v7
	v_mul_f32_e32 v7, 0x5f7ffffc, v7
	v_mul_f32_e32 v8, 0x2f800000, v7
	v_trunc_f32_e32 v8, v8
	v_fmac_f32_e32 v7, 0xcf800000, v8
	v_cvt_u32_f32_e32 v8, v8
	v_cvt_u32_f32_e32 v7, v7
	v_readfirstlane_b32 s7, v8
	v_readfirstlane_b32 s16, v7
	s_mul_i32 s23, s17, s7
	s_mul_hi_u32 s25, s17, s16
	s_mul_i32 s24, s22, s16
	s_add_i32 s23, s25, s23
	s_mul_i32 s26, s17, s16
	s_add_i32 s23, s23, s24
	s_mul_hi_u32 s25, s16, s26
	s_mul_i32 s28, s16, s23
	s_mul_hi_u32 s27, s7, s26
	s_mul_i32 s24, s7, s26
	s_mul_hi_u32 s26, s16, s23
	s_add_u32 s25, s25, s28
	s_addc_u32 s26, 0, s26
	s_mul_hi_u32 s29, s7, s23
	s_add_u32 s24, s25, s24
	s_mul_i32 s23, s7, s23
	s_addc_u32 s24, s26, s27
	s_addc_u32 s25, s29, 0
	s_add_u32 s23, s24, s23
	s_addc_u32 s24, 0, s25
	s_add_u32 s16, s16, s23
	s_cselect_b32 s23, -1, 0
	s_mul_hi_u32 s25, s17, s16
	s_cmp_lg_u32 s23, 0
	s_mul_i32 s23, s17, s16
	s_addc_u32 s7, s7, s24
	s_mul_i32 s22, s22, s16
	s_mul_i32 s17, s17, s7
	s_mul_hi_u32 s24, s16, s23
	s_add_i32 s17, s25, s17
	s_mul_hi_u32 s25, s7, s23
	s_add_i32 s17, s17, s22
	s_mul_i32 s22, s7, s23
	s_mul_i32 s27, s16, s17
	s_mul_hi_u32 s26, s16, s17
	s_add_u32 s24, s24, s27
	s_addc_u32 s26, 0, s26
	s_mul_hi_u32 s23, s7, s17
	s_add_u32 s22, s24, s22
	s_mul_i32 s17, s7, s17
	s_addc_u32 s22, s26, s25
	s_addc_u32 s23, s23, 0
	s_add_u32 s17, s22, s17
	s_addc_u32 s22, 0, s23
	s_add_u32 s24, s16, s17
	s_cselect_b32 s16, -1, 0
	s_cmp_lg_u32 s16, 0
	s_addc_u32 s7, s7, s22
	s_ashr_i32 s16, s5, 31
	s_add_u32 s22, s6, s16
	s_mov_b32 s17, s16
	s_addc_u32 s23, s5, s16
	s_xor_b64 s[22:23], s[22:23], s[16:17]
	s_mul_i32 s25, s22, s7
	s_mul_hi_u32 s26, s22, s24
	s_mul_hi_u32 s5, s22, s7
	;; [unrolled: 1-line block ×3, first 2 shown]
	s_mul_i32 s24, s23, s24
	s_add_u32 s25, s26, s25
	s_addc_u32 s5, 0, s5
	s_mul_hi_u32 s27, s23, s7
	s_add_u32 s24, s25, s24
	s_mul_i32 s7, s23, s7
	s_addc_u32 s5, s5, s28
	s_addc_u32 s24, s27, 0
	s_add_u32 s5, s5, s7
	s_addc_u32 s7, 0, s24
	s_mul_hi_u32 s24, s0, s5
	s_mul_i32 s25, s0, s7
	s_mul_i32 s26, s1, s5
	s_add_i32 s24, s24, s25
	s_mul_i32 s25, s0, s5
	s_add_i32 s24, s24, s26
	s_sub_i32 s26, s23, s24
	s_sub_u32 s22, s22, s25
	s_cselect_b32 s25, -1, 0
	s_cmp_lg_u32 s25, 0
	s_subb_u32 s26, s26, s1
	s_sub_u32 s27, s22, s0
	s_cselect_b32 s28, -1, 0
	s_cmp_lg_u32 s28, 0
	s_subb_u32 s26, s26, 0
	s_cmp_ge_u32 s26, s1
	s_cselect_b32 s28, -1, 0
	s_cmp_ge_u32 s27, s0
	s_cselect_b32 s27, -1, 0
	s_cmp_eq_u32 s26, s1
	s_cselect_b32 s26, s27, s28
	s_add_u32 s27, s5, 1
	s_addc_u32 s28, s7, 0
	s_add_u32 s29, s5, 2
	s_addc_u32 s30, s7, 0
	s_cmp_lg_u32 s26, 0
	s_cselect_b32 s26, s29, s27
	s_cselect_b32 s27, s30, s28
	s_cmp_lg_u32 s25, 0
	s_subb_u32 s23, s23, s24
	s_cmp_ge_u32 s23, s1
	s_cselect_b32 s24, -1, 0
	s_cmp_ge_u32 s22, s0
	s_cselect_b32 s0, -1, 0
	s_cmp_eq_u32 s23, s1
	s_cselect_b32 s0, s0, s24
	s_cmp_lg_u32 s0, 0
	s_cselect_b32 s1, s27, s7
	s_cselect_b32 s0, s26, s5
	s_xor_b64 s[16:17], s[16:17], 0
	s_mov_b32 s7, 0
	s_xor_b64 s[0:1], s[0:1], s[16:17]
	s_sub_u32 s0, s0, s16
.LBB7_11:                               ;   in Loop: Header=BB7_9 Depth=1
	s_andn2_b32 vcc_lo, exec_lo, s7
	s_cbranch_vccnz .LBB7_13
; %bb.12:                               ;   in Loop: Header=BB7_9 Depth=1
	v_readfirstlane_b32 s0, v4
	s_mul_i32 s1, s2, s0
	s_mul_hi_u32 s1, s0, s1
	s_add_i32 s0, s0, s1
	s_mul_hi_u32 s0, s6, s0
	s_mul_i32 s1, s0, s9
	s_add_i32 s5, s0, 1
	s_sub_i32 s1, s6, s1
	s_sub_i32 s6, s1, s9
	s_cmp_ge_u32 s1, s9
	s_cselect_b32 s0, s5, s0
	s_cselect_b32 s1, s6, s1
	s_add_i32 s5, s0, 1
	s_cmp_ge_u32 s1, s9
	s_cselect_b32 s0, s5, s0
.LBB7_13:                               ;   in Loop: Header=BB7_9 Depth=1
	s_cmp_lg_u32 s10, s0
	s_mov_b32 s6, -1
                                        ; implicit-def: $sgpr5
                                        ; implicit-def: $vgpr8
                                        ; implicit-def: $vgpr7
                                        ; implicit-def: $vgpr9
                                        ; implicit-def: $sgpr1
                                        ; implicit-def: $sgpr16
	s_cbranch_scc0 .LBB7_18
; %bb.14:                               ;   in Loop: Header=BB7_9 Depth=1
	s_add_i32 s1, s8, s9
	s_mov_b32 s7, s4
	s_lshl_b32 s1, s1, 3
	s_mov_b32 s16, s10
	s_add_i32 s6, s1, s15
	s_mul_hi_u32 s1, s0, s12
	s_lshl_b64 s[6:7], s[6:7], 3
	s_add_u32 s6, s18, s6
	s_addc_u32 s7, s19, s7
	s_add_i32 s1, s1, s0
	s_lshr_b32 s1, s1, s13
	s_mul_i32 s5, s1, s14
	s_cmp_eq_u32 s5, s0
	s_cselect_b32 s5, -1, 0
	s_cmp_lt_u32 s1, s11
	s_cselect_b32 s1, -1, 0
	s_or_b32 s1, s1, s5
	s_mov_b32 s5, -1
	s_and_b32 vcc_lo, exec_lo, s1
	s_mov_b32 s1, s8
	s_cbranch_vccnz .LBB7_16
; %bb.15:                               ;   in Loop: Header=BB7_9 Depth=1
	s_add_i32 s1, s8, -1
	s_mov_b32 s5, 0
	s_mov_b32 s16, s0
.LBB7_16:                               ;   in Loop: Header=BB7_9 Depth=1
	v_lshl_add_u32 v7, s8, 9, v0
	s_load_dwordx2 s[6:7], s[6:7], 0x0
	v_ashrrev_i32_e32 v8, 31, v7
	v_lshlrev_b64 v[7:8], 2, v[7:8]
	v_add_co_u32 v7, vcc_lo, s20, v7
	v_add_co_ci_u32_e64 v8, null, s21, v8, vcc_lo
	s_waitcnt lgkmcnt(0)
	v_max_f32_e64 v9, s6, s6
	global_load_dword v8, v[7:8], off
	v_max_f32_e32 v7, v6, v6
	v_max_f32_e32 v7, v7, v9
	v_sub_f32_e32 v9, s6, v7
	v_sub_f32_e32 v10, v6, v7
	v_mul_f32_e32 v11, 0x3fb8aa3b, v9
	v_mul_f32_e32 v12, 0x3fb8aa3b, v10
	v_cmp_ngt_f32_e32 vcc_lo, 0xc2ce8ed0, v9
	v_fma_f32 v13, 0x3fb8aa3b, v9, -v11
	v_rndne_f32_e32 v14, v11
	v_fma_f32 v15, 0x3fb8aa3b, v10, -v12
	v_rndne_f32_e32 v16, v12
	v_fmac_f32_e32 v13, 0x32a5705f, v9
	v_sub_f32_e32 v11, v11, v14
	v_fmac_f32_e32 v15, 0x32a5705f, v10
	v_sub_f32_e32 v12, v12, v16
	v_add_f32_e32 v11, v11, v13
	v_cvt_i32_f32_e32 v13, v14
	v_add_f32_e32 v12, v12, v15
	v_cvt_i32_f32_e32 v14, v16
	v_exp_f32_e32 v11, v11
	v_exp_f32_e32 v12, v12
	v_ldexp_f32 v11, v11, v13
	v_ldexp_f32 v12, v12, v14
	v_cndmask_b32_e32 v11, 0, v11, vcc_lo
	v_cmp_ngt_f32_e32 vcc_lo, 0xc2ce8ed0, v10
	v_cndmask_b32_e32 v12, 0, v12, vcc_lo
	v_cmp_nlt_f32_e32 vcc_lo, 0x42b17218, v9
	v_cndmask_b32_e32 v11, 0x7f800000, v11, vcc_lo
	v_cmp_nlt_f32_e32 vcc_lo, 0x42b17218, v10
	v_cndmask_b32_e32 v12, 0x7f800000, v12, vcc_lo
	v_cmp_le_f32_e32 vcc_lo, 0xc1a00000, v9
	v_cndmask_b32_e32 v9, 0, v11, vcc_lo
	v_cmp_le_f32_e32 vcc_lo, 0xc1a00000, v10
	v_cndmask_b32_e32 v10, 0, v12, vcc_lo
	s_waitcnt vmcnt(0)
	v_mul_f32_e32 v8, v8, v9
	v_mul_f32_e32 v9, s7, v9
	v_fmac_f32_e32 v8, v3, v10
	v_fmac_f32_e32 v9, v5, v10
	s_cbranch_execz .LBB7_19
.LBB7_17:                               ;   in Loop: Header=BB7_9 Depth=1
	s_andn2_b32 vcc_lo, exec_lo, s5
	s_cbranch_vccnz .LBB7_20
	s_branch .LBB7_23
.LBB7_18:                               ;   in Loop: Header=BB7_9 Depth=1
	s_andn2_b32 vcc_lo, exec_lo, s6
	s_cbranch_vccnz .LBB7_17
.LBB7_19:                               ;   in Loop: Header=BB7_9 Depth=1
	v_mov_b32_e32 v9, v5
	v_mov_b32_e32 v7, v6
	s_waitcnt vmcnt(0)
	v_mov_b32_e32 v8, v3
	s_add_i32 s1, s8, -1
	s_mov_b32 s16, s10
	s_cbranch_execz .LBB7_23
.LBB7_20:                               ;   in Loop: Header=BB7_9 Depth=1
	v_mov_b32_e32 v5, v9
	v_mov_b32_e32 v6, v7
	s_waitcnt vmcnt(0)
	v_mov_b32_e32 v3, v8
	s_mov_b32 s10, s16
	s_mov_b32 s8, s1
	s_branch .LBB7_9
.LBB7_21:
                                        ; implicit-def: $sgpr10_sgpr11
	s_load_dwordx4 s[12:15], s[4:5], 0x44
	s_branch .LBB7_2
.LBB7_22:
                                        ; implicit-def: $sgpr18_sgpr19
	s_branch .LBB7_5
.LBB7_23:
	v_div_scale_f32 v0, null, v9, v9, v8
	s_waitcnt vmcnt(0)
	v_rcp_f32_e32 v3, v0
	v_fma_f32 v4, -v0, v3, 1.0
	v_fmac_f32_e32 v3, v4, v3
	v_div_scale_f32 v4, vcc_lo, v8, v9, v8
	v_mul_f32_e32 v5, v4, v3
	v_fma_f32 v6, -v0, v5, v4
	v_fmac_f32_e32 v5, v6, v3
	v_fma_f32 v0, -v0, v5, v4
	v_div_fmas_f32 v0, v0, v3, v5
	v_div_fixup_f32 v0, v0, v9, v8
	global_store_dword v[1:2], v0, off
.LBB7_24:
	s_endpgm
	.section	.rodata,"a",@progbits
	.p2align	6, 0x0
	.amdhsa_kernel _ZL33flash_attn_stream_k_fixup_generalILi64ELi8ELi1EEvPfPK15HIP_vector_typeIfLj2EEiiiiS1_IjLj3EES5_S5_S5_
		.amdhsa_group_segment_fixed_size 0
		.amdhsa_private_segment_fixed_size 0
		.amdhsa_kernarg_size 336
		.amdhsa_user_sgpr_count 6
		.amdhsa_user_sgpr_private_segment_buffer 1
		.amdhsa_user_sgpr_dispatch_ptr 0
		.amdhsa_user_sgpr_queue_ptr 0
		.amdhsa_user_sgpr_kernarg_segment_ptr 1
		.amdhsa_user_sgpr_dispatch_id 0
		.amdhsa_user_sgpr_flat_scratch_init 0
		.amdhsa_user_sgpr_private_segment_size 0
		.amdhsa_wavefront_size32 1
		.amdhsa_uses_dynamic_stack 0
		.amdhsa_system_sgpr_private_segment_wavefront_offset 0
		.amdhsa_system_sgpr_workgroup_id_x 1
		.amdhsa_system_sgpr_workgroup_id_y 1
		.amdhsa_system_sgpr_workgroup_id_z 1
		.amdhsa_system_sgpr_workgroup_info 0
		.amdhsa_system_vgpr_workitem_id 0
		.amdhsa_next_free_vgpr 17
		.amdhsa_next_free_sgpr 31
		.amdhsa_reserve_vcc 1
		.amdhsa_reserve_flat_scratch 0
		.amdhsa_float_round_mode_32 0
		.amdhsa_float_round_mode_16_64 0
		.amdhsa_float_denorm_mode_32 3
		.amdhsa_float_denorm_mode_16_64 3
		.amdhsa_dx10_clamp 1
		.amdhsa_ieee_mode 1
		.amdhsa_fp16_overflow 0
		.amdhsa_workgroup_processor_mode 1
		.amdhsa_memory_ordered 1
		.amdhsa_forward_progress 1
		.amdhsa_shared_vgpr_count 0
		.amdhsa_exception_fp_ieee_invalid_op 0
		.amdhsa_exception_fp_denorm_src 0
		.amdhsa_exception_fp_ieee_div_zero 0
		.amdhsa_exception_fp_ieee_overflow 0
		.amdhsa_exception_fp_ieee_underflow 0
		.amdhsa_exception_fp_ieee_inexact 0
		.amdhsa_exception_int_div_zero 0
	.end_amdhsa_kernel
	.section	.text._ZL33flash_attn_stream_k_fixup_generalILi64ELi8ELi1EEvPfPK15HIP_vector_typeIfLj2EEiiiiS1_IjLj3EES5_S5_S5_,"axG",@progbits,_ZL33flash_attn_stream_k_fixup_generalILi64ELi8ELi1EEvPfPK15HIP_vector_typeIfLj2EEiiiiS1_IjLj3EES5_S5_S5_,comdat
.Lfunc_end7:
	.size	_ZL33flash_attn_stream_k_fixup_generalILi64ELi8ELi1EEvPfPK15HIP_vector_typeIfLj2EEiiiiS1_IjLj3EES5_S5_S5_, .Lfunc_end7-_ZL33flash_attn_stream_k_fixup_generalILi64ELi8ELi1EEvPfPK15HIP_vector_typeIfLj2EEiiiiS1_IjLj3EES5_S5_S5_
                                        ; -- End function
	.set _ZL33flash_attn_stream_k_fixup_generalILi64ELi8ELi1EEvPfPK15HIP_vector_typeIfLj2EEiiiiS1_IjLj3EES5_S5_S5_.num_vgpr, 17
	.set _ZL33flash_attn_stream_k_fixup_generalILi64ELi8ELi1EEvPfPK15HIP_vector_typeIfLj2EEiiiiS1_IjLj3EES5_S5_S5_.num_agpr, 0
	.set _ZL33flash_attn_stream_k_fixup_generalILi64ELi8ELi1EEvPfPK15HIP_vector_typeIfLj2EEiiiiS1_IjLj3EES5_S5_S5_.numbered_sgpr, 31
	.set _ZL33flash_attn_stream_k_fixup_generalILi64ELi8ELi1EEvPfPK15HIP_vector_typeIfLj2EEiiiiS1_IjLj3EES5_S5_S5_.num_named_barrier, 0
	.set _ZL33flash_attn_stream_k_fixup_generalILi64ELi8ELi1EEvPfPK15HIP_vector_typeIfLj2EEiiiiS1_IjLj3EES5_S5_S5_.private_seg_size, 0
	.set _ZL33flash_attn_stream_k_fixup_generalILi64ELi8ELi1EEvPfPK15HIP_vector_typeIfLj2EEiiiiS1_IjLj3EES5_S5_S5_.uses_vcc, 1
	.set _ZL33flash_attn_stream_k_fixup_generalILi64ELi8ELi1EEvPfPK15HIP_vector_typeIfLj2EEiiiiS1_IjLj3EES5_S5_S5_.uses_flat_scratch, 0
	.set _ZL33flash_attn_stream_k_fixup_generalILi64ELi8ELi1EEvPfPK15HIP_vector_typeIfLj2EEiiiiS1_IjLj3EES5_S5_S5_.has_dyn_sized_stack, 0
	.set _ZL33flash_attn_stream_k_fixup_generalILi64ELi8ELi1EEvPfPK15HIP_vector_typeIfLj2EEiiiiS1_IjLj3EES5_S5_S5_.has_recursion, 0
	.set _ZL33flash_attn_stream_k_fixup_generalILi64ELi8ELi1EEvPfPK15HIP_vector_typeIfLj2EEiiiiS1_IjLj3EES5_S5_S5_.has_indirect_call, 0
	.section	.AMDGPU.csdata,"",@progbits
; Kernel info:
; codeLenInByte = 2936
; TotalNumSgprs: 33
; NumVgprs: 17
; ScratchSize: 0
; MemoryBound: 0
; FloatMode: 240
; IeeeMode: 1
; LDSByteSize: 0 bytes/workgroup (compile time only)
; SGPRBlocks: 0
; VGPRBlocks: 2
; NumSGPRsForWavesPerEU: 33
; NumVGPRsForWavesPerEU: 17
; Occupancy: 16
; WaveLimiterHint : 0
; COMPUTE_PGM_RSRC2:SCRATCH_EN: 0
; COMPUTE_PGM_RSRC2:USER_SGPR: 6
; COMPUTE_PGM_RSRC2:TRAP_HANDLER: 0
; COMPUTE_PGM_RSRC2:TGID_X_EN: 1
; COMPUTE_PGM_RSRC2:TGID_Y_EN: 1
; COMPUTE_PGM_RSRC2:TGID_Z_EN: 1
; COMPUTE_PGM_RSRC2:TIDIG_COMP_CNT: 0
	.section	.text._ZL26flash_attn_combine_resultsILi64EEvPKfPK15HIP_vector_typeIfLj2EEPfi,"axG",@progbits,_ZL26flash_attn_combine_resultsILi64EEvPKfPK15HIP_vector_typeIfLj2EEPfi,comdat
	.globl	_ZL26flash_attn_combine_resultsILi64EEvPKfPK15HIP_vector_typeIfLj2EEPfi ; -- Begin function _ZL26flash_attn_combine_resultsILi64EEvPKfPK15HIP_vector_typeIfLj2EEPfi
	.p2align	8
	.type	_ZL26flash_attn_combine_resultsILi64EEvPKfPK15HIP_vector_typeIfLj2EEPfi,@function
_ZL26flash_attn_combine_resultsILi64EEvPKfPK15HIP_vector_typeIfLj2EEPfi: ; @_ZL26flash_attn_combine_resultsILi64EEvPKfPK15HIP_vector_typeIfLj2EEPfi
; %bb.0:
	s_clause 0x3
	s_load_dwordx2 s[2:3], s[4:5], 0x20
	s_load_dword s9, s[4:5], 0x18
	s_load_dwordx4 s[12:15], s[4:5], 0x0
	s_load_dwordx2 s[10:11], s[4:5], 0x10
	v_lshlrev_b32_e32 v5, 2, v0
	s_mov_b32 s4, exec_lo
	s_waitcnt lgkmcnt(0)
	s_mul_i32 s0, s2, s8
	s_lshl_b32 s1, s9, 1
	s_add_i32 s0, s0, s6
	s_mul_i32 s6, s0, s3
	s_add_i32 s6, s6, s7
	s_mul_i32 s2, s6, s9
	v_cmpx_gt_i32_e64 s1, v0
	s_cbranch_execz .LBB8_3
; %bb.1:
	s_ashr_i32 s3, s2, 31
	v_add_nc_u32_e32 v3, 0, v5
	s_lshl_b64 s[16:17], s[2:3], 3
	v_mov_b32_e32 v4, v0
	s_add_u32 s0, s14, s16
	s_addc_u32 s3, s15, s17
	v_add_co_u32 v1, s0, s0, v5
	v_add_co_ci_u32_e64 v2, null, s3, 0, s0
	s_mov_b32 s3, 0
	.p2align	6
.LBB8_2:                                ; =>This Inner Loop Header: Depth=1
	global_load_dword v6, v[1:2], off
	v_add_nc_u32_e32 v4, 64, v4
	v_add_co_u32 v1, vcc_lo, 0x100, v1
	v_add_co_ci_u32_e64 v2, null, 0, v2, vcc_lo
	v_cmp_le_i32_e64 s0, s1, v4
	s_or_b32 s3, s0, s3
	s_waitcnt vmcnt(0)
	ds_write_b32 v3, v6
	v_add_nc_u32_e32 v3, 0x100, v3
	s_andn2_b32 exec_lo, exec_lo, s3
	s_cbranch_execnz .LBB8_2
.LBB8_3:
	s_or_b32 exec_lo, exec_lo, s4
	v_mov_b32_e32 v1, 0
	s_waitcnt lgkmcnt(0)
	s_barrier
	buffer_gl0_inv
	s_cmp_lt_i32 s9, 2
	ds_read_b32 v6, v1
	s_cbranch_scc1 .LBB8_11
; %bb.4:
	s_add_i32 s1, s9, -2
	s_add_i32 s0, s9, -1
	s_cmp_lt_u32 s1, 7
	s_cbranch_scc1 .LBB8_8
; %bb.5:
	s_mov_b32 s3, 0
	s_add_i32 s1, 0, 8
	s_and_b32 s4, s0, -8
	.p2align	6
.LBB8_6:                                ; =>This Inner Loop Header: Depth=1
	v_mov_b32_e32 v9, s1
	s_mov_b32 s5, s3
	s_add_i32 s3, s3, 8
	s_add_i32 s1, s1, 64
	s_cmp_eq_u32 s4, s3
	ds_read2_b32 v[1:2], v9 offset1:2
	ds_read2_b32 v[3:4], v9 offset0:4 offset1:6
	ds_read2_b32 v[7:8], v9 offset0:8 offset1:10
	;; [unrolled: 1-line block ×3, first 2 shown]
	s_waitcnt lgkmcnt(3)
	v_max3_f32 v1, v6, v1, v2
	s_waitcnt lgkmcnt(2)
	v_max3_f32 v1, v1, v3, v4
	s_waitcnt lgkmcnt(1)
	v_max3_f32 v1, v1, v7, v8
	s_waitcnt lgkmcnt(0)
	v_max3_f32 v6, v1, v9, v10
	s_cbranch_scc0 .LBB8_6
; %bb.7:
	s_add_i32 s1, s5, 9
	s_and_b32 s0, s0, 7
	s_cmp_eq_u32 s0, 0
	s_cbranch_scc0 .LBB8_9
	s_branch .LBB8_11
.LBB8_8:
	s_mov_b32 s1, 1
	s_and_b32 s0, s0, 7
	s_cmp_eq_u32 s0, 0
	s_cbranch_scc1 .LBB8_11
.LBB8_9:
	s_lshl_b32 s1, s1, 3
	s_add_i32 s1, s1, 0
.LBB8_10:                               ; =>This Inner Loop Header: Depth=1
	v_mov_b32_e32 v1, s1
	s_waitcnt lgkmcnt(0)
	v_max_f32_e32 v2, v6, v6
	s_add_i32 s0, s0, -1
	s_add_i32 s1, s1, 8
	s_cmp_lg_u32 s0, 0
	ds_read_b32 v1, v1
	s_waitcnt lgkmcnt(0)
	v_max_f32_e32 v1, v1, v1
	v_max_f32_e32 v6, v2, v1
	s_cbranch_scc1 .LBB8_10
.LBB8_11:
	s_cmp_lt_i32 s9, 1
	s_cbranch_scc1 .LBB8_16
; %bb.12:
	s_lshl_b32 s0, s2, 6
	s_ashr_i32 s1, s0, 31
	s_lshl_b64 s[0:1], s[0:1], 2
	s_add_u32 s7, s12, s0
	s_addc_u32 s8, s13, s1
	s_cmp_lt_u32 s9, 8
	s_cbranch_scc1 .LBB8_17
; %bb.13:
	v_or_b32_e32 v1, 0x1c0, v0
	v_mov_b32_e32 v4, 0
	v_mov_b32_e32 v7, 0
	;; [unrolled: 1-line block ×3, first 2 shown]
	s_and_b32 s12, s9, 0x7ffffff8
	s_mov_b32 s13, 0
	s_mov_b32 s14, 0
.LBB8_14:                               ; =>This Inner Loop Header: Depth=1
	v_add_nc_u32_e32 v3, 0xfffffe40, v1
	v_mov_b32_e32 v2, v4
	v_mov_b32_e32 v21, s14
	s_add_i32 s13, s13, 8
	s_add_i32 s14, s14, 64
	v_lshlrev_b64 v[9:10], 2, v[3:4]
	v_add_nc_u32_e32 v3, 0xfffffe80, v1
	v_lshlrev_b64 v[11:12], 2, v[1:2]
	s_cmp_eq_u32 s12, s13
	v_lshlrev_b64 v[13:14], 2, v[3:4]
	v_add_nc_u32_e32 v3, 0xfffffec0, v1
	v_add_co_u32 v9, vcc_lo, s7, v9
	v_add_co_ci_u32_e64 v10, null, s8, v10, vcc_lo
	v_add_co_u32 v13, vcc_lo, s7, v13
	v_lshlrev_b64 v[15:16], 2, v[3:4]
	v_add_nc_u32_e32 v3, 0xffffff00, v1
	v_add_co_ci_u32_e64 v14, null, s8, v14, vcc_lo
	s_clause 0x1
	global_load_dword v25, v[9:10], off
	global_load_dword v26, v[13:14], off
	v_lshlrev_b64 v[9:10], 2, v[3:4]
	v_add_nc_u32_e32 v3, 0xffffff40, v1
	v_add_co_u32 v13, vcc_lo, s7, v15
	v_add_co_ci_u32_e64 v14, null, s8, v16, vcc_lo
	v_add_co_u32 v9, vcc_lo, s7, v9
	v_lshlrev_b64 v[15:16], 2, v[3:4]
	v_add_nc_u32_e32 v3, 0xffffff80, v1
	v_add_co_ci_u32_e64 v10, null, s8, v10, vcc_lo
	s_clause 0x1
	global_load_dword v27, v[13:14], off
	global_load_dword v28, v[9:10], off
	v_lshlrev_b64 v[13:14], 2, v[3:4]
	v_subrev_nc_u32_e32 v3, 64, v1
	v_add_co_u32 v9, vcc_lo, s7, v15
	v_add_co_ci_u32_e64 v10, null, s8, v16, vcc_lo
	v_add_co_u32 v13, vcc_lo, s7, v13
	v_lshlrev_b64 v[2:3], 2, v[3:4]
	v_add_co_ci_u32_e64 v14, null, s8, v14, vcc_lo
	s_clause 0x1
	global_load_dword v29, v[9:10], off
	global_load_dword v30, v[13:14], off
	v_add_co_u32 v2, vcc_lo, s7, v2
	v_add_co_ci_u32_e64 v3, null, s8, v3, vcc_lo
	v_add_co_u32 v9, vcc_lo, s7, v11
	v_add_co_ci_u32_e64 v10, null, s8, v12, vcc_lo
	s_clause 0x1
	global_load_dword v2, v[2:3], off
	global_load_dword v3, v[9:10], off
	ds_read2_b64 v[9:12], v21 offset1:1
	ds_read2_b64 v[13:16], v21 offset0:2 offset1:3
	ds_read2_b64 v[17:20], v21 offset0:4 offset1:5
	;; [unrolled: 1-line block ×3, first 2 shown]
	v_add_nc_u32_e32 v1, 0x200, v1
	s_waitcnt lgkmcnt(3)
	v_sub_f32_e32 v9, v9, v6
	v_sub_f32_e32 v11, v11, v6
	s_waitcnt lgkmcnt(2)
	v_sub_f32_e32 v13, v13, v6
	v_sub_f32_e32 v15, v15, v6
	s_waitcnt lgkmcnt(1)
	v_sub_f32_e32 v17, v17, v6
	v_mul_f32_e32 v31, 0x3fb8aa3b, v9
	v_mul_f32_e32 v32, 0x3fb8aa3b, v11
	v_mul_f32_e32 v33, 0x3fb8aa3b, v13
	v_mul_f32_e32 v34, 0x3fb8aa3b, v15
	v_sub_f32_e32 v19, v19, v6
	v_fma_f32 v39, 0x3fb8aa3b, v9, -v31
	v_rndne_f32_e32 v40, v31
	v_fma_f32 v41, 0x3fb8aa3b, v11, -v32
	v_rndne_f32_e32 v42, v32
	v_fma_f32 v43, 0x3fb8aa3b, v13, -v33
	v_fmac_f32_e32 v39, 0x32a5705f, v9
	v_sub_f32_e32 v31, v31, v40
	v_rndne_f32_e32 v44, v33
	v_fmac_f32_e32 v41, 0x32a5705f, v11
	v_sub_f32_e32 v32, v32, v42
	v_fmac_f32_e32 v43, 0x32a5705f, v13
	v_add_f32_e32 v31, v31, v39
	v_sub_f32_e32 v33, v33, v44
	v_mul_f32_e32 v35, 0x3fb8aa3b, v17
	v_add_f32_e32 v32, v32, v41
	v_fma_f32 v45, 0x3fb8aa3b, v15, -v34
	v_exp_f32_e32 v31, v31
	v_rndne_f32_e32 v46, v34
	v_add_f32_e32 v33, v33, v43
	v_cvt_i32_f32_e32 v40, v40
	v_exp_f32_e32 v32, v32
	s_waitcnt lgkmcnt(0)
	v_sub_f32_e32 v21, v21, v6
	v_mul_f32_e32 v36, 0x3fb8aa3b, v19
	v_fma_f32 v47, 0x3fb8aa3b, v17, -v35
	v_rndne_f32_e32 v48, v35
	v_cvt_i32_f32_e32 v42, v42
	v_fmac_f32_e32 v45, 0x32a5705f, v15
	v_sub_f32_e32 v34, v34, v46
	v_exp_f32_e32 v33, v33
	v_ldexp_f32 v31, v31, v40
	v_cmp_ngt_f32_e64 s5, 0xc2ce8ed0, v9
	v_sub_f32_e32 v23, v23, v6
	v_mul_f32_e32 v37, 0x3fb8aa3b, v21
	v_fma_f32 v49, 0x3fb8aa3b, v19, -v36
	v_rndne_f32_e32 v50, v36
	v_cvt_i32_f32_e32 v44, v44
	v_fmac_f32_e32 v47, 0x32a5705f, v17
	v_sub_f32_e32 v35, v35, v48
	v_add_f32_e32 v34, v34, v45
	v_ldexp_f32 v32, v32, v42
	v_cndmask_b32_e64 v31, 0, v31, s5
	v_cmp_ngt_f32_e64 s5, 0xc2ce8ed0, v11
	v_mul_f32_e32 v38, 0x3fb8aa3b, v23
	v_fma_f32 v51, 0x3fb8aa3b, v21, -v37
	v_rndne_f32_e32 v39, v37
	v_fmac_f32_e32 v49, 0x32a5705f, v19
	v_sub_f32_e32 v36, v36, v50
	v_add_f32_e32 v35, v35, v47
	v_exp_f32_e32 v34, v34
	v_ldexp_f32 v33, v33, v44
	v_cmp_ngt_f32_e32 vcc_lo, 0xc2ce8ed0, v13
	v_cndmask_b32_e64 v32, 0, v32, s5
	v_cmp_nlt_f32_e64 s5, 0x42b17218, v9
	v_fma_f32 v41, 0x3fb8aa3b, v23, -v38
	v_rndne_f32_e32 v43, v38
	v_cvt_i32_f32_e32 v46, v46
	v_fmac_f32_e32 v51, 0x32a5705f, v21
	v_sub_f32_e32 v37, v37, v39
	v_add_f32_e32 v36, v36, v49
	v_exp_f32_e32 v35, v35
	v_cndmask_b32_e64 v9, 0x7f800000, v31, s5
	v_cndmask_b32_e32 v31, 0, v33, vcc_lo
	v_cmp_nlt_f32_e32 vcc_lo, 0x42b17218, v11
	v_cvt_i32_f32_e32 v48, v48
	v_fmac_f32_e32 v41, 0x32a5705f, v23
	v_sub_f32_e32 v38, v38, v43
	v_add_f32_e32 v37, v37, v51
	v_exp_f32_e32 v36, v36
	v_ldexp_f32 v34, v34, v46
	v_cmp_ngt_f32_e64 s0, 0xc2ce8ed0, v15
	v_cndmask_b32_e32 v11, 0x7f800000, v32, vcc_lo
	v_fmac_f32_e32 v8, v9, v10
	v_cmp_nlt_f32_e32 vcc_lo, 0x42b17218, v13
	v_cvt_i32_f32_e32 v50, v50
	v_add_f32_e32 v38, v38, v41
	v_exp_f32_e32 v37, v37
	v_ldexp_f32 v35, v35, v48
	v_cmp_ngt_f32_e64 s1, 0xc2ce8ed0, v17
	v_cndmask_b32_e32 v10, 0x7f800000, v31, vcc_lo
	v_fmac_f32_e32 v8, v11, v12
	v_cmp_nlt_f32_e32 vcc_lo, 0x42b17218, v15
	v_cvt_i32_f32_e32 v39, v39
	v_exp_f32_e32 v38, v38
	v_ldexp_f32 v36, v36, v50
	v_cmp_ngt_f32_e64 s2, 0xc2ce8ed0, v19
	v_fmac_f32_e32 v8, v10, v14
	v_cvt_i32_f32_e32 v43, v43
	v_ldexp_f32 v37, v37, v39
	v_cmp_ngt_f32_e64 s3, 0xc2ce8ed0, v21
	v_cmp_ngt_f32_e64 s4, 0xc2ce8ed0, v23
	v_ldexp_f32 v38, v38, v43
	s_waitcnt vmcnt(7)
	v_fmac_f32_e32 v7, v25, v9
	v_cndmask_b32_e64 v9, 0, v34, s0
	s_waitcnt vmcnt(6)
	v_fmac_f32_e32 v7, v26, v11
	v_cndmask_b32_e64 v11, 0, v35, s1
	v_cndmask_b32_e32 v9, 0x7f800000, v9, vcc_lo
	v_cmp_nlt_f32_e32 vcc_lo, 0x42b17218, v17
	v_fmac_f32_e32 v8, v9, v16
	v_cndmask_b32_e32 v11, 0x7f800000, v11, vcc_lo
	v_cmp_nlt_f32_e32 vcc_lo, 0x42b17218, v19
	s_waitcnt vmcnt(5)
	v_fmac_f32_e32 v7, v27, v10
	v_cndmask_b32_e64 v10, 0, v36, s2
	v_fmac_f32_e32 v8, v11, v18
	s_waitcnt vmcnt(4)
	v_fmac_f32_e32 v7, v28, v9
	v_cndmask_b32_e64 v9, 0, v37, s3
	v_cndmask_b32_e32 v10, 0x7f800000, v10, vcc_lo
	v_cmp_nlt_f32_e32 vcc_lo, 0x42b17218, v21
	v_fmac_f32_e32 v8, v10, v20
	v_cndmask_b32_e32 v9, 0x7f800000, v9, vcc_lo
	v_cmp_nlt_f32_e32 vcc_lo, 0x42b17218, v23
	s_waitcnt vmcnt(3)
	v_fmac_f32_e32 v7, v29, v11
	v_cndmask_b32_e64 v11, 0, v38, s4
	v_fmac_f32_e32 v8, v9, v22
	s_waitcnt vmcnt(2)
	v_fmac_f32_e32 v7, v30, v10
	v_cndmask_b32_e32 v10, 0x7f800000, v11, vcc_lo
	s_waitcnt vmcnt(1)
	v_fmac_f32_e32 v7, v2, v9
	v_fmac_f32_e32 v8, v10, v24
	s_waitcnt vmcnt(0)
	v_fmac_f32_e32 v7, v3, v10
	s_cbranch_scc0 .LBB8_14
; %bb.15:
	s_and_b32 s0, s9, 7
	s_cmp_eq_u32 s0, 0
	s_cbranch_scc0 .LBB8_18
	s_branch .LBB8_20
.LBB8_16:
	v_mov_b32_e32 v0, 0x7fc00000
	s_branch .LBB8_21
.LBB8_17:
	v_mov_b32_e32 v7, 0
	v_mov_b32_e32 v8, 0
	s_mov_b32 s12, 0
	s_and_b32 s0, s9, 7
	s_cmp_eq_u32 s0, 0
	s_cbranch_scc1 .LBB8_20
.LBB8_18:
	v_lshl_or_b32 v0, s12, 6, v0
	v_mov_b32_e32 v1, 0
	s_lshl_b32 s1, s12, 3
	s_add_i32 s1, s1, 0
	s_inst_prefetch 0x1
	.p2align	6
.LBB8_19:                               ; =>This Inner Loop Header: Depth=1
	v_lshlrev_b64 v[2:3], 2, v[0:1]
	v_add_nc_u32_e32 v0, 64, v0
	s_add_i32 s0, s0, -1
	v_add_co_u32 v2, vcc_lo, s7, v2
	v_add_co_ci_u32_e64 v3, null, s8, v3, vcc_lo
	global_load_dword v4, v[2:3], off
	v_mov_b32_e32 v2, s1
	s_add_i32 s1, s1, 8
	s_cmp_lg_u32 s0, 0
	ds_read_b64 v[2:3], v2
	s_waitcnt lgkmcnt(0)
	v_sub_f32_e32 v2, v2, v6
	v_mul_f32_e32 v9, 0x3fb8aa3b, v2
	v_cmp_ngt_f32_e32 vcc_lo, 0xc2ce8ed0, v2
	v_fma_f32 v10, 0x3fb8aa3b, v2, -v9
	v_rndne_f32_e32 v11, v9
	v_fmac_f32_e32 v10, 0x32a5705f, v2
	v_sub_f32_e32 v9, v9, v11
	v_add_f32_e32 v9, v9, v10
	v_cvt_i32_f32_e32 v10, v11
	v_exp_f32_e32 v9, v9
	v_ldexp_f32 v9, v9, v10
	v_cndmask_b32_e32 v9, 0, v9, vcc_lo
	v_cmp_nlt_f32_e32 vcc_lo, 0x42b17218, v2
	v_cndmask_b32_e32 v2, 0x7f800000, v9, vcc_lo
	v_fmac_f32_e32 v8, v2, v3
	s_waitcnt vmcnt(0)
	v_fmac_f32_e32 v7, v4, v2
	s_cbranch_scc1 .LBB8_19
.LBB8_20:
	s_inst_prefetch 0x2
	v_div_scale_f32 v0, null, v8, v8, v7
	v_rcp_f32_e32 v1, v0
	v_fma_f32 v2, -v0, v1, 1.0
	v_fmac_f32_e32 v1, v2, v1
	v_div_scale_f32 v2, vcc_lo, v7, v8, v7
	v_mul_f32_e32 v3, v2, v1
	v_fma_f32 v4, -v0, v3, v2
	v_fmac_f32_e32 v3, v4, v1
	v_fma_f32 v0, -v0, v3, v2
	v_div_fmas_f32 v0, v0, v1, v3
	v_div_fixup_f32 v0, v0, v8, v7
.LBB8_21:
	s_lshl_b32 s0, s6, 6
	s_ashr_i32 s1, s0, 31
	s_lshl_b64 s[0:1], s[0:1], 2
	s_add_u32 s0, s10, s0
	s_addc_u32 s1, s11, s1
	global_store_dword v5, v0, s[0:1]
	s_endpgm
	.section	.rodata,"a",@progbits
	.p2align	6, 0x0
	.amdhsa_kernel _ZL26flash_attn_combine_resultsILi64EEvPKfPK15HIP_vector_typeIfLj2EEPfi
		.amdhsa_group_segment_fixed_size 0
		.amdhsa_private_segment_fixed_size 0
		.amdhsa_kernarg_size 288
		.amdhsa_user_sgpr_count 6
		.amdhsa_user_sgpr_private_segment_buffer 1
		.amdhsa_user_sgpr_dispatch_ptr 0
		.amdhsa_user_sgpr_queue_ptr 0
		.amdhsa_user_sgpr_kernarg_segment_ptr 1
		.amdhsa_user_sgpr_dispatch_id 0
		.amdhsa_user_sgpr_flat_scratch_init 0
		.amdhsa_user_sgpr_private_segment_size 0
		.amdhsa_wavefront_size32 1
		.amdhsa_uses_dynamic_stack 0
		.amdhsa_system_sgpr_private_segment_wavefront_offset 0
		.amdhsa_system_sgpr_workgroup_id_x 1
		.amdhsa_system_sgpr_workgroup_id_y 1
		.amdhsa_system_sgpr_workgroup_id_z 1
		.amdhsa_system_sgpr_workgroup_info 0
		.amdhsa_system_vgpr_workitem_id 0
		.amdhsa_next_free_vgpr 52
		.amdhsa_next_free_sgpr 18
		.amdhsa_reserve_vcc 1
		.amdhsa_reserve_flat_scratch 0
		.amdhsa_float_round_mode_32 0
		.amdhsa_float_round_mode_16_64 0
		.amdhsa_float_denorm_mode_32 3
		.amdhsa_float_denorm_mode_16_64 3
		.amdhsa_dx10_clamp 1
		.amdhsa_ieee_mode 1
		.amdhsa_fp16_overflow 0
		.amdhsa_workgroup_processor_mode 1
		.amdhsa_memory_ordered 1
		.amdhsa_forward_progress 1
		.amdhsa_shared_vgpr_count 0
		.amdhsa_exception_fp_ieee_invalid_op 0
		.amdhsa_exception_fp_denorm_src 0
		.amdhsa_exception_fp_ieee_div_zero 0
		.amdhsa_exception_fp_ieee_overflow 0
		.amdhsa_exception_fp_ieee_underflow 0
		.amdhsa_exception_fp_ieee_inexact 0
		.amdhsa_exception_int_div_zero 0
	.end_amdhsa_kernel
	.section	.text._ZL26flash_attn_combine_resultsILi64EEvPKfPK15HIP_vector_typeIfLj2EEPfi,"axG",@progbits,_ZL26flash_attn_combine_resultsILi64EEvPKfPK15HIP_vector_typeIfLj2EEPfi,comdat
.Lfunc_end8:
	.size	_ZL26flash_attn_combine_resultsILi64EEvPKfPK15HIP_vector_typeIfLj2EEPfi, .Lfunc_end8-_ZL26flash_attn_combine_resultsILi64EEvPKfPK15HIP_vector_typeIfLj2EEPfi
                                        ; -- End function
	.set _ZL26flash_attn_combine_resultsILi64EEvPKfPK15HIP_vector_typeIfLj2EEPfi.num_vgpr, 52
	.set _ZL26flash_attn_combine_resultsILi64EEvPKfPK15HIP_vector_typeIfLj2EEPfi.num_agpr, 0
	.set _ZL26flash_attn_combine_resultsILi64EEvPKfPK15HIP_vector_typeIfLj2EEPfi.numbered_sgpr, 18
	.set _ZL26flash_attn_combine_resultsILi64EEvPKfPK15HIP_vector_typeIfLj2EEPfi.num_named_barrier, 0
	.set _ZL26flash_attn_combine_resultsILi64EEvPKfPK15HIP_vector_typeIfLj2EEPfi.private_seg_size, 0
	.set _ZL26flash_attn_combine_resultsILi64EEvPKfPK15HIP_vector_typeIfLj2EEPfi.uses_vcc, 1
	.set _ZL26flash_attn_combine_resultsILi64EEvPKfPK15HIP_vector_typeIfLj2EEPfi.uses_flat_scratch, 0
	.set _ZL26flash_attn_combine_resultsILi64EEvPKfPK15HIP_vector_typeIfLj2EEPfi.has_dyn_sized_stack, 0
	.set _ZL26flash_attn_combine_resultsILi64EEvPKfPK15HIP_vector_typeIfLj2EEPfi.has_recursion, 0
	.set _ZL26flash_attn_combine_resultsILi64EEvPKfPK15HIP_vector_typeIfLj2EEPfi.has_indirect_call, 0
	.section	.AMDGPU.csdata,"",@progbits
; Kernel info:
; codeLenInByte = 2260
; TotalNumSgprs: 20
; NumVgprs: 52
; ScratchSize: 0
; MemoryBound: 0
; FloatMode: 240
; IeeeMode: 1
; LDSByteSize: 0 bytes/workgroup (compile time only)
; SGPRBlocks: 0
; VGPRBlocks: 6
; NumSGPRsForWavesPerEU: 20
; NumVGPRsForWavesPerEU: 52
; Occupancy: 16
; WaveLimiterHint : 0
; COMPUTE_PGM_RSRC2:SCRATCH_EN: 0
; COMPUTE_PGM_RSRC2:USER_SGPR: 6
; COMPUTE_PGM_RSRC2:TRAP_HANDLER: 0
; COMPUTE_PGM_RSRC2:TGID_X_EN: 1
; COMPUTE_PGM_RSRC2:TGID_Y_EN: 1
; COMPUTE_PGM_RSRC2:TGID_Z_EN: 1
; COMPUTE_PGM_RSRC2:TIDIG_COMP_CNT: 0
	.section	.text._ZL18flash_attn_ext_f16ILi80ELi80ELi8ELi1ELb0ELb0EEvPKcS1_S1_S1_S1_PKiPfP15HIP_vector_typeIfLj2EEffffjfiS5_IjLj3EEiiiiiiiiiiiliiliiiiil,"axG",@progbits,_ZL18flash_attn_ext_f16ILi80ELi80ELi8ELi1ELb0ELb0EEvPKcS1_S1_S1_S1_PKiPfP15HIP_vector_typeIfLj2EEffffjfiS5_IjLj3EEiiiiiiiiiiiliiliiiiil,comdat
	.globl	_ZL18flash_attn_ext_f16ILi80ELi80ELi8ELi1ELb0ELb0EEvPKcS1_S1_S1_S1_PKiPfP15HIP_vector_typeIfLj2EEffffjfiS5_IjLj3EEiiiiiiiiiiiliiliiiiil ; -- Begin function _ZL18flash_attn_ext_f16ILi80ELi80ELi8ELi1ELb0ELb0EEvPKcS1_S1_S1_S1_PKiPfP15HIP_vector_typeIfLj2EEffffjfiS5_IjLj3EEiiiiiiiiiiiliiliiiiil
	.p2align	8
	.type	_ZL18flash_attn_ext_f16ILi80ELi80ELi8ELi1ELb0ELb0EEvPKcS1_S1_S1_S1_PKiPfP15HIP_vector_typeIfLj2EEffffjfiS5_IjLj3EEiiiiiiiiiiiliiliiiiil,@function
_ZL18flash_attn_ext_f16ILi80ELi80ELi8ELi1ELb0ELb0EEvPKcS1_S1_S1_S1_PKiPfP15HIP_vector_typeIfLj2EEffffjfiS5_IjLj3EEiiiiiiiiiiiliiliiiiil: ; @_ZL18flash_attn_ext_f16ILi80ELi80ELi8ELi1ELb0ELb0EEvPKcS1_S1_S1_S1_PKiPfP15HIP_vector_typeIfLj2EEffffjfiS5_IjLj3EEiiiiiiiiiiiliiliiiiil
; %bb.0:
	s_add_u32 s0, s0, s7
	s_addc_u32 s1, s1, 0
	s_add_u32 s8, s4, 0xd0
	s_addc_u32 s9, s5, 0
	s_getpc_b64 s[4:5]
	s_add_u32 s4, s4, _ZL14no_device_codePKciS0_iS0_@rel32@lo+4
	s_addc_u32 s5, s5, _ZL14no_device_codePKciS0_iS0_@rel32@hi+12
	s_mov_b32 s32, 0
	s_swappc_b64 s[30:31], s[4:5]
	.section	.rodata,"a",@progbits
	.p2align	6, 0x0
	.amdhsa_kernel _ZL18flash_attn_ext_f16ILi80ELi80ELi8ELi1ELb0ELb0EEvPKcS1_S1_S1_S1_PKiPfP15HIP_vector_typeIfLj2EEffffjfiS5_IjLj3EEiiiiiiiiiiiliiliiiiil
		.amdhsa_group_segment_fixed_size 0
		.amdhsa_private_segment_fixed_size 16
		.amdhsa_kernarg_size 464
		.amdhsa_user_sgpr_count 6
		.amdhsa_user_sgpr_private_segment_buffer 1
		.amdhsa_user_sgpr_dispatch_ptr 0
		.amdhsa_user_sgpr_queue_ptr 0
		.amdhsa_user_sgpr_kernarg_segment_ptr 1
		.amdhsa_user_sgpr_dispatch_id 0
		.amdhsa_user_sgpr_flat_scratch_init 0
		.amdhsa_user_sgpr_private_segment_size 0
		.amdhsa_wavefront_size32 1
		.amdhsa_uses_dynamic_stack 0
		.amdhsa_system_sgpr_private_segment_wavefront_offset 1
		.amdhsa_system_sgpr_workgroup_id_x 1
		.amdhsa_system_sgpr_workgroup_id_y 0
		.amdhsa_system_sgpr_workgroup_id_z 0
		.amdhsa_system_sgpr_workgroup_info 0
		.amdhsa_system_vgpr_workitem_id 0
		.amdhsa_next_free_vgpr 40
		.amdhsa_next_free_sgpr 34
		.amdhsa_reserve_vcc 1
		.amdhsa_reserve_flat_scratch 0
		.amdhsa_float_round_mode_32 0
		.amdhsa_float_round_mode_16_64 0
		.amdhsa_float_denorm_mode_32 3
		.amdhsa_float_denorm_mode_16_64 3
		.amdhsa_dx10_clamp 1
		.amdhsa_ieee_mode 1
		.amdhsa_fp16_overflow 0
		.amdhsa_workgroup_processor_mode 1
		.amdhsa_memory_ordered 1
		.amdhsa_forward_progress 1
		.amdhsa_shared_vgpr_count 0
		.amdhsa_exception_fp_ieee_invalid_op 0
		.amdhsa_exception_fp_denorm_src 0
		.amdhsa_exception_fp_ieee_div_zero 0
		.amdhsa_exception_fp_ieee_overflow 0
		.amdhsa_exception_fp_ieee_underflow 0
		.amdhsa_exception_fp_ieee_inexact 0
		.amdhsa_exception_int_div_zero 0
	.end_amdhsa_kernel
	.section	.text._ZL18flash_attn_ext_f16ILi80ELi80ELi8ELi1ELb0ELb0EEvPKcS1_S1_S1_S1_PKiPfP15HIP_vector_typeIfLj2EEffffjfiS5_IjLj3EEiiiiiiiiiiiliiliiiiil,"axG",@progbits,_ZL18flash_attn_ext_f16ILi80ELi80ELi8ELi1ELb0ELb0EEvPKcS1_S1_S1_S1_PKiPfP15HIP_vector_typeIfLj2EEffffjfiS5_IjLj3EEiiiiiiiiiiiliiliiiiil,comdat
.Lfunc_end9:
	.size	_ZL18flash_attn_ext_f16ILi80ELi80ELi8ELi1ELb0ELb0EEvPKcS1_S1_S1_S1_PKiPfP15HIP_vector_typeIfLj2EEffffjfiS5_IjLj3EEiiiiiiiiiiiliiliiiiil, .Lfunc_end9-_ZL18flash_attn_ext_f16ILi80ELi80ELi8ELi1ELb0ELb0EEvPKcS1_S1_S1_S1_PKiPfP15HIP_vector_typeIfLj2EEffffjfiS5_IjLj3EEiiiiiiiiiiiliiliiiiil
                                        ; -- End function
	.set _ZL18flash_attn_ext_f16ILi80ELi80ELi8ELi1ELb0ELb0EEvPKcS1_S1_S1_S1_PKiPfP15HIP_vector_typeIfLj2EEffffjfiS5_IjLj3EEiiiiiiiiiiiliiliiiiil.num_vgpr, max(0, .L_ZL14no_device_codePKciS0_iS0_.num_vgpr)
	.set _ZL18flash_attn_ext_f16ILi80ELi80ELi8ELi1ELb0ELb0EEvPKcS1_S1_S1_S1_PKiPfP15HIP_vector_typeIfLj2EEffffjfiS5_IjLj3EEiiiiiiiiiiiliiliiiiil.num_agpr, max(0, .L_ZL14no_device_codePKciS0_iS0_.num_agpr)
	.set _ZL18flash_attn_ext_f16ILi80ELi80ELi8ELi1ELb0ELb0EEvPKcS1_S1_S1_S1_PKiPfP15HIP_vector_typeIfLj2EEffffjfiS5_IjLj3EEiiiiiiiiiiiliiliiiiil.numbered_sgpr, max(33, .L_ZL14no_device_codePKciS0_iS0_.numbered_sgpr)
	.set _ZL18flash_attn_ext_f16ILi80ELi80ELi8ELi1ELb0ELb0EEvPKcS1_S1_S1_S1_PKiPfP15HIP_vector_typeIfLj2EEffffjfiS5_IjLj3EEiiiiiiiiiiiliiliiiiil.num_named_barrier, max(0, .L_ZL14no_device_codePKciS0_iS0_.num_named_barrier)
	.set _ZL18flash_attn_ext_f16ILi80ELi80ELi8ELi1ELb0ELb0EEvPKcS1_S1_S1_S1_PKiPfP15HIP_vector_typeIfLj2EEffffjfiS5_IjLj3EEiiiiiiiiiiiliiliiiiil.private_seg_size, 0+max(.L_ZL14no_device_codePKciS0_iS0_.private_seg_size)
	.set _ZL18flash_attn_ext_f16ILi80ELi80ELi8ELi1ELb0ELb0EEvPKcS1_S1_S1_S1_PKiPfP15HIP_vector_typeIfLj2EEffffjfiS5_IjLj3EEiiiiiiiiiiiliiliiiiil.uses_vcc, or(1, .L_ZL14no_device_codePKciS0_iS0_.uses_vcc)
	.set _ZL18flash_attn_ext_f16ILi80ELi80ELi8ELi1ELb0ELb0EEvPKcS1_S1_S1_S1_PKiPfP15HIP_vector_typeIfLj2EEffffjfiS5_IjLj3EEiiiiiiiiiiiliiliiiiil.uses_flat_scratch, or(0, .L_ZL14no_device_codePKciS0_iS0_.uses_flat_scratch)
	.set _ZL18flash_attn_ext_f16ILi80ELi80ELi8ELi1ELb0ELb0EEvPKcS1_S1_S1_S1_PKiPfP15HIP_vector_typeIfLj2EEffffjfiS5_IjLj3EEiiiiiiiiiiiliiliiiiil.has_dyn_sized_stack, or(0, .L_ZL14no_device_codePKciS0_iS0_.has_dyn_sized_stack)
	.set _ZL18flash_attn_ext_f16ILi80ELi80ELi8ELi1ELb0ELb0EEvPKcS1_S1_S1_S1_PKiPfP15HIP_vector_typeIfLj2EEffffjfiS5_IjLj3EEiiiiiiiiiiiliiliiiiil.has_recursion, or(0, .L_ZL14no_device_codePKciS0_iS0_.has_recursion)
	.set _ZL18flash_attn_ext_f16ILi80ELi80ELi8ELi1ELb0ELb0EEvPKcS1_S1_S1_S1_PKiPfP15HIP_vector_typeIfLj2EEffffjfiS5_IjLj3EEiiiiiiiiiiiliiliiiiil.has_indirect_call, or(0, .L_ZL14no_device_codePKciS0_iS0_.has_indirect_call)
	.section	.AMDGPU.csdata,"",@progbits
; Kernel info:
; codeLenInByte = 48
; TotalNumSgprs: 36
; NumVgprs: 40
; ScratchSize: 16
; MemoryBound: 0
; FloatMode: 240
; IeeeMode: 1
; LDSByteSize: 0 bytes/workgroup (compile time only)
; SGPRBlocks: 0
; VGPRBlocks: 4
; NumSGPRsForWavesPerEU: 36
; NumVGPRsForWavesPerEU: 40
; Occupancy: 16
; WaveLimiterHint : 1
; COMPUTE_PGM_RSRC2:SCRATCH_EN: 1
; COMPUTE_PGM_RSRC2:USER_SGPR: 6
; COMPUTE_PGM_RSRC2:TRAP_HANDLER: 0
; COMPUTE_PGM_RSRC2:TGID_X_EN: 1
; COMPUTE_PGM_RSRC2:TGID_Y_EN: 0
; COMPUTE_PGM_RSRC2:TGID_Z_EN: 0
; COMPUTE_PGM_RSRC2:TIDIG_COMP_CNT: 0
	.section	.text._ZL18flash_attn_ext_f16ILi80ELi80ELi8ELi1ELb1ELb0EEvPKcS1_S1_S1_S1_PKiPfP15HIP_vector_typeIfLj2EEffffjfiS5_IjLj3EEiiiiiiiiiiiliiliiiiil,"axG",@progbits,_ZL18flash_attn_ext_f16ILi80ELi80ELi8ELi1ELb1ELb0EEvPKcS1_S1_S1_S1_PKiPfP15HIP_vector_typeIfLj2EEffffjfiS5_IjLj3EEiiiiiiiiiiiliiliiiiil,comdat
	.globl	_ZL18flash_attn_ext_f16ILi80ELi80ELi8ELi1ELb1ELb0EEvPKcS1_S1_S1_S1_PKiPfP15HIP_vector_typeIfLj2EEffffjfiS5_IjLj3EEiiiiiiiiiiiliiliiiiil ; -- Begin function _ZL18flash_attn_ext_f16ILi80ELi80ELi8ELi1ELb1ELb0EEvPKcS1_S1_S1_S1_PKiPfP15HIP_vector_typeIfLj2EEffffjfiS5_IjLj3EEiiiiiiiiiiiliiliiiiil
	.p2align	8
	.type	_ZL18flash_attn_ext_f16ILi80ELi80ELi8ELi1ELb1ELb0EEvPKcS1_S1_S1_S1_PKiPfP15HIP_vector_typeIfLj2EEffffjfiS5_IjLj3EEiiiiiiiiiiiliiliiiiil,@function
_ZL18flash_attn_ext_f16ILi80ELi80ELi8ELi1ELb1ELb0EEvPKcS1_S1_S1_S1_PKiPfP15HIP_vector_typeIfLj2EEffffjfiS5_IjLj3EEiiiiiiiiiiiliiliiiiil: ; @_ZL18flash_attn_ext_f16ILi80ELi80ELi8ELi1ELb1ELb0EEvPKcS1_S1_S1_S1_PKiPfP15HIP_vector_typeIfLj2EEffffjfiS5_IjLj3EEiiiiiiiiiiiliiliiiiil
; %bb.0:
	s_add_u32 s0, s0, s7
	s_addc_u32 s1, s1, 0
	s_add_u32 s8, s4, 0xd0
	s_addc_u32 s9, s5, 0
	s_getpc_b64 s[4:5]
	s_add_u32 s4, s4, _ZL14no_device_codePKciS0_iS0_@rel32@lo+4
	s_addc_u32 s5, s5, _ZL14no_device_codePKciS0_iS0_@rel32@hi+12
	s_mov_b32 s32, 0
	s_swappc_b64 s[30:31], s[4:5]
	.section	.rodata,"a",@progbits
	.p2align	6, 0x0
	.amdhsa_kernel _ZL18flash_attn_ext_f16ILi80ELi80ELi8ELi1ELb1ELb0EEvPKcS1_S1_S1_S1_PKiPfP15HIP_vector_typeIfLj2EEffffjfiS5_IjLj3EEiiiiiiiiiiiliiliiiiil
		.amdhsa_group_segment_fixed_size 0
		.amdhsa_private_segment_fixed_size 16
		.amdhsa_kernarg_size 464
		.amdhsa_user_sgpr_count 6
		.amdhsa_user_sgpr_private_segment_buffer 1
		.amdhsa_user_sgpr_dispatch_ptr 0
		.amdhsa_user_sgpr_queue_ptr 0
		.amdhsa_user_sgpr_kernarg_segment_ptr 1
		.amdhsa_user_sgpr_dispatch_id 0
		.amdhsa_user_sgpr_flat_scratch_init 0
		.amdhsa_user_sgpr_private_segment_size 0
		.amdhsa_wavefront_size32 1
		.amdhsa_uses_dynamic_stack 0
		.amdhsa_system_sgpr_private_segment_wavefront_offset 1
		.amdhsa_system_sgpr_workgroup_id_x 1
		.amdhsa_system_sgpr_workgroup_id_y 0
		.amdhsa_system_sgpr_workgroup_id_z 0
		.amdhsa_system_sgpr_workgroup_info 0
		.amdhsa_system_vgpr_workitem_id 0
		.amdhsa_next_free_vgpr 40
		.amdhsa_next_free_sgpr 34
		.amdhsa_reserve_vcc 1
		.amdhsa_reserve_flat_scratch 0
		.amdhsa_float_round_mode_32 0
		.amdhsa_float_round_mode_16_64 0
		.amdhsa_float_denorm_mode_32 3
		.amdhsa_float_denorm_mode_16_64 3
		.amdhsa_dx10_clamp 1
		.amdhsa_ieee_mode 1
		.amdhsa_fp16_overflow 0
		.amdhsa_workgroup_processor_mode 1
		.amdhsa_memory_ordered 1
		.amdhsa_forward_progress 1
		.amdhsa_shared_vgpr_count 0
		.amdhsa_exception_fp_ieee_invalid_op 0
		.amdhsa_exception_fp_denorm_src 0
		.amdhsa_exception_fp_ieee_div_zero 0
		.amdhsa_exception_fp_ieee_overflow 0
		.amdhsa_exception_fp_ieee_underflow 0
		.amdhsa_exception_fp_ieee_inexact 0
		.amdhsa_exception_int_div_zero 0
	.end_amdhsa_kernel
	.section	.text._ZL18flash_attn_ext_f16ILi80ELi80ELi8ELi1ELb1ELb0EEvPKcS1_S1_S1_S1_PKiPfP15HIP_vector_typeIfLj2EEffffjfiS5_IjLj3EEiiiiiiiiiiiliiliiiiil,"axG",@progbits,_ZL18flash_attn_ext_f16ILi80ELi80ELi8ELi1ELb1ELb0EEvPKcS1_S1_S1_S1_PKiPfP15HIP_vector_typeIfLj2EEffffjfiS5_IjLj3EEiiiiiiiiiiiliiliiiiil,comdat
.Lfunc_end10:
	.size	_ZL18flash_attn_ext_f16ILi80ELi80ELi8ELi1ELb1ELb0EEvPKcS1_S1_S1_S1_PKiPfP15HIP_vector_typeIfLj2EEffffjfiS5_IjLj3EEiiiiiiiiiiiliiliiiiil, .Lfunc_end10-_ZL18flash_attn_ext_f16ILi80ELi80ELi8ELi1ELb1ELb0EEvPKcS1_S1_S1_S1_PKiPfP15HIP_vector_typeIfLj2EEffffjfiS5_IjLj3EEiiiiiiiiiiiliiliiiiil
                                        ; -- End function
	.set _ZL18flash_attn_ext_f16ILi80ELi80ELi8ELi1ELb1ELb0EEvPKcS1_S1_S1_S1_PKiPfP15HIP_vector_typeIfLj2EEffffjfiS5_IjLj3EEiiiiiiiiiiiliiliiiiil.num_vgpr, max(0, .L_ZL14no_device_codePKciS0_iS0_.num_vgpr)
	.set _ZL18flash_attn_ext_f16ILi80ELi80ELi8ELi1ELb1ELb0EEvPKcS1_S1_S1_S1_PKiPfP15HIP_vector_typeIfLj2EEffffjfiS5_IjLj3EEiiiiiiiiiiiliiliiiiil.num_agpr, max(0, .L_ZL14no_device_codePKciS0_iS0_.num_agpr)
	.set _ZL18flash_attn_ext_f16ILi80ELi80ELi8ELi1ELb1ELb0EEvPKcS1_S1_S1_S1_PKiPfP15HIP_vector_typeIfLj2EEffffjfiS5_IjLj3EEiiiiiiiiiiiliiliiiiil.numbered_sgpr, max(33, .L_ZL14no_device_codePKciS0_iS0_.numbered_sgpr)
	.set _ZL18flash_attn_ext_f16ILi80ELi80ELi8ELi1ELb1ELb0EEvPKcS1_S1_S1_S1_PKiPfP15HIP_vector_typeIfLj2EEffffjfiS5_IjLj3EEiiiiiiiiiiiliiliiiiil.num_named_barrier, max(0, .L_ZL14no_device_codePKciS0_iS0_.num_named_barrier)
	.set _ZL18flash_attn_ext_f16ILi80ELi80ELi8ELi1ELb1ELb0EEvPKcS1_S1_S1_S1_PKiPfP15HIP_vector_typeIfLj2EEffffjfiS5_IjLj3EEiiiiiiiiiiiliiliiiiil.private_seg_size, 0+max(.L_ZL14no_device_codePKciS0_iS0_.private_seg_size)
	.set _ZL18flash_attn_ext_f16ILi80ELi80ELi8ELi1ELb1ELb0EEvPKcS1_S1_S1_S1_PKiPfP15HIP_vector_typeIfLj2EEffffjfiS5_IjLj3EEiiiiiiiiiiiliiliiiiil.uses_vcc, or(1, .L_ZL14no_device_codePKciS0_iS0_.uses_vcc)
	.set _ZL18flash_attn_ext_f16ILi80ELi80ELi8ELi1ELb1ELb0EEvPKcS1_S1_S1_S1_PKiPfP15HIP_vector_typeIfLj2EEffffjfiS5_IjLj3EEiiiiiiiiiiiliiliiiiil.uses_flat_scratch, or(0, .L_ZL14no_device_codePKciS0_iS0_.uses_flat_scratch)
	.set _ZL18flash_attn_ext_f16ILi80ELi80ELi8ELi1ELb1ELb0EEvPKcS1_S1_S1_S1_PKiPfP15HIP_vector_typeIfLj2EEffffjfiS5_IjLj3EEiiiiiiiiiiiliiliiiiil.has_dyn_sized_stack, or(0, .L_ZL14no_device_codePKciS0_iS0_.has_dyn_sized_stack)
	.set _ZL18flash_attn_ext_f16ILi80ELi80ELi8ELi1ELb1ELb0EEvPKcS1_S1_S1_S1_PKiPfP15HIP_vector_typeIfLj2EEffffjfiS5_IjLj3EEiiiiiiiiiiiliiliiiiil.has_recursion, or(0, .L_ZL14no_device_codePKciS0_iS0_.has_recursion)
	.set _ZL18flash_attn_ext_f16ILi80ELi80ELi8ELi1ELb1ELb0EEvPKcS1_S1_S1_S1_PKiPfP15HIP_vector_typeIfLj2EEffffjfiS5_IjLj3EEiiiiiiiiiiiliiliiiiil.has_indirect_call, or(0, .L_ZL14no_device_codePKciS0_iS0_.has_indirect_call)
	.section	.AMDGPU.csdata,"",@progbits
; Kernel info:
; codeLenInByte = 48
; TotalNumSgprs: 36
; NumVgprs: 40
; ScratchSize: 16
; MemoryBound: 0
; FloatMode: 240
; IeeeMode: 1
; LDSByteSize: 0 bytes/workgroup (compile time only)
; SGPRBlocks: 0
; VGPRBlocks: 4
; NumSGPRsForWavesPerEU: 36
; NumVGPRsForWavesPerEU: 40
; Occupancy: 16
; WaveLimiterHint : 1
; COMPUTE_PGM_RSRC2:SCRATCH_EN: 1
; COMPUTE_PGM_RSRC2:USER_SGPR: 6
; COMPUTE_PGM_RSRC2:TRAP_HANDLER: 0
; COMPUTE_PGM_RSRC2:TGID_X_EN: 1
; COMPUTE_PGM_RSRC2:TGID_Y_EN: 0
; COMPUTE_PGM_RSRC2:TGID_Z_EN: 0
; COMPUTE_PGM_RSRC2:TIDIG_COMP_CNT: 0
	.section	.text._ZL33flash_attn_stream_k_fixup_uniformILi80ELi8ELi1EEvPfPK15HIP_vector_typeIfLj2EEiiiiiiS1_IjLj3EES5_S5_,"axG",@progbits,_ZL33flash_attn_stream_k_fixup_uniformILi80ELi8ELi1EEvPfPK15HIP_vector_typeIfLj2EEiiiiiiS1_IjLj3EES5_S5_,comdat
	.globl	_ZL33flash_attn_stream_k_fixup_uniformILi80ELi8ELi1EEvPfPK15HIP_vector_typeIfLj2EEiiiiiiS1_IjLj3EES5_S5_ ; -- Begin function _ZL33flash_attn_stream_k_fixup_uniformILi80ELi8ELi1EEvPfPK15HIP_vector_typeIfLj2EEiiiiiiS1_IjLj3EES5_S5_
	.p2align	8
	.type	_ZL33flash_attn_stream_k_fixup_uniformILi80ELi8ELi1EEvPfPK15HIP_vector_typeIfLj2EEiiiiiiS1_IjLj3EES5_S5_,@function
_ZL33flash_attn_stream_k_fixup_uniformILi80ELi8ELi1EEvPfPK15HIP_vector_typeIfLj2EEiiiiiiS1_IjLj3EES5_S5_: ; @_ZL33flash_attn_stream_k_fixup_uniformILi80ELi8ELi1EEvPfPK15HIP_vector_typeIfLj2EEiiiiiiS1_IjLj3EES5_S5_
; %bb.0:
	s_clause 0x2
	s_load_dwordx8 s[12:19], s[4:5], 0x1c
	s_load_dwordx4 s[20:23], s[4:5], 0x3c
	s_load_dwordx2 s[10:11], s[4:5], 0x10
	s_waitcnt lgkmcnt(0)
	s_mul_hi_u32 s0, s15, s6
	s_add_i32 s0, s6, s0
	s_lshr_b32 s0, s0, s16
	s_mul_i32 s1, s0, s17
	s_sub_i32 s1, s6, s1
	s_mul_hi_u32 s2, s1, s18
	s_add_i32 s2, s1, s2
	s_lshr_b32 s9, s2, s19
	s_mul_i32 s2, s9, s20
	s_sub_i32 s1, s1, s2
	;; [unrolled: 5-line block ×3, first 2 shown]
	s_lshl_b32 s1, s15, 3
	s_add_i32 s1, s1, s7
	s_cmp_lt_i32 s1, s10
	s_cselect_b32 s1, -1, 0
	s_add_i32 s16, s16, s8
	s_cmp_lt_i32 s16, s13
	s_cselect_b32 s2, -1, 0
	s_and_b32 s1, s1, s2
	s_andn2_b32 vcc_lo, exec_lo, s1
	s_cbranch_vccnz .LBB11_6
; %bb.1:
	s_mul_i32 s10, s0, s10
	s_load_dwordx4 s[0:3], s[4:5], 0x0
	s_add_i32 s4, s10, s7
	s_mul_i32 s9, s9, s13
	s_mul_i32 s4, s4, s11
	s_add_i32 s5, s16, s9
	s_mul_i32 s9, s11, s15
	s_add_i32 s4, s5, s4
	s_mulk_i32 s9, 0x280
	s_mulk_i32 s4, 0x50
	s_add_i32 s8, s7, s8
	v_add3_u32 v1, s4, s9, v0
	s_mul_i32 s4, s14, s6
	s_add_i32 s9, s4, s14
	v_ashrrev_i32_e32 v2, 31, v1
	v_lshlrev_b64 v[1:2], 2, v[1:2]
	s_waitcnt lgkmcnt(0)
	v_add_co_u32 v1, vcc_lo, s0, v1
	v_add_co_ci_u32_e64 v2, null, s1, v2, vcc_lo
	s_lshl_b32 s0, s9, 3
	s_add_i32 s0, s8, s0
	global_load_dword v5, v[1:2], off
	s_add_i32 s0, s0, -8
	s_ashr_i32 s1, s0, 31
	s_lshl_b64 s[0:1], s[0:1], 3
	s_add_u32 s0, s2, s0
	s_addc_u32 s1, s3, s1
	s_add_i32 s5, s9, -2
	s_load_dword s10, s[0:1], 0x4
	s_cmp_lt_i32 s5, s4
	s_cbranch_scc1 .LBB11_4
; %bb.2:
	s_load_dword s11, s[0:1], 0x0
	s_lshl_b32 s0, s12, 5
	s_waitcnt lgkmcnt(0)
	v_mov_b32_e32 v6, s10
	s_ashr_i32 s1, s0, 31
	s_lshl_b64 s[0:1], s[0:1], 2
	s_add_u32 s5, s2, s0
	s_addc_u32 s7, s3, s1
	s_add_i32 s6, s6, 1
	s_mul_i32 s1, s8, 0x50
	s_mul_i32 s0, s14, s6
	s_lshl_b32 s6, s0, 3
	s_mulk_i32 s0, 0x280
	s_add_i32 s6, s8, s6
	s_add_i32 s1, s1, s0
	s_lshl_b32 s0, s12, 3
	v_add3_u32 v3, s1, v0, 0xfffffb00
	s_add_i32 s0, s6, s0
	v_mov_b32_e32 v0, s11
	s_add_i32 s6, s9, -1
	s_add_i32 s0, s0, -16
.LBB11_3:                               ; =>This Inner Loop Header: Depth=1
	v_ashrrev_i32_e32 v4, 31, v3
	s_ashr_i32 s1, s0, 31
	s_lshl_b64 s[8:9], s[0:1], 3
	s_add_u32 s8, s2, s8
	v_lshlrev_b64 v[7:8], 2, v[3:4]
	s_addc_u32 s9, s3, s9
	v_add_nc_u32_e32 v3, 0xfffffd80, v3
	s_add_i32 s6, s6, -1
	s_add_i32 s0, s0, -8
	s_cmp_le_i32 s6, s4
	v_add_co_u32 v7, vcc_lo, s5, v7
	v_add_co_ci_u32_e64 v8, null, s7, v8, vcc_lo
	s_load_dwordx2 s[8:9], s[8:9], 0x0
	global_load_dword v4, v[7:8], off
	v_max_f32_e32 v7, v0, v0
	s_waitcnt lgkmcnt(0)
	v_max_f32_e64 v8, s8, s8
	v_max_f32_e32 v7, v7, v8
	v_sub_f32_e32 v8, s8, v7
	v_sub_f32_e32 v0, v0, v7
	v_mul_f32_e32 v9, 0x3fb8aa3b, v8
	v_mul_f32_e32 v12, 0x3fb8aa3b, v0
	v_cmp_ngt_f32_e32 vcc_lo, 0xc2ce8ed0, v8
	v_fma_f32 v10, 0x3fb8aa3b, v8, -v9
	v_rndne_f32_e32 v11, v9
	v_fma_f32 v13, 0x3fb8aa3b, v0, -v12
	v_rndne_f32_e32 v14, v12
	v_fmac_f32_e32 v10, 0x32a5705f, v8
	v_sub_f32_e32 v9, v9, v11
	v_fmac_f32_e32 v13, 0x32a5705f, v0
	v_cvt_i32_f32_e32 v11, v11
	v_add_f32_e32 v9, v9, v10
	v_sub_f32_e32 v10, v12, v14
	v_exp_f32_e32 v9, v9
	v_add_f32_e32 v10, v10, v13
	v_exp_f32_e32 v10, v10
	v_ldexp_f32 v9, v9, v11
	v_cvt_i32_f32_e32 v11, v14
	v_cndmask_b32_e32 v9, 0, v9, vcc_lo
	v_cmp_nlt_f32_e32 vcc_lo, 0x42b17218, v8
	v_ldexp_f32 v10, v10, v11
	v_mov_b32_e32 v11, v6
	v_cndmask_b32_e32 v9, 0x7f800000, v9, vcc_lo
	v_cmp_ngt_f32_e32 vcc_lo, 0xc2ce8ed0, v0
	v_cndmask_b32_e32 v10, 0, v10, vcc_lo
	v_cmp_le_f32_e32 vcc_lo, 0xc1a00000, v8
	v_cndmask_b32_e32 v8, 0, v9, vcc_lo
	v_cmp_nlt_f32_e32 vcc_lo, 0x42b17218, v0
	s_waitcnt vmcnt(1)
	v_mov_b32_e32 v9, v5
	v_cndmask_b32_e32 v5, 0x7f800000, v10, vcc_lo
	v_mul_f32_e32 v10, s9, v8
	v_cmp_le_f32_e32 vcc_lo, 0xc1a00000, v0
	v_mov_b32_e32 v0, v7
	v_mov_b32_e32 v6, v10
	v_cndmask_b32_e32 v12, 0, v5, vcc_lo
	v_fmac_f32_e32 v6, v11, v12
	s_waitcnt vmcnt(0)
	v_mul_f32_e32 v5, v4, v8
	v_fmac_f32_e32 v5, v9, v12
	s_cbranch_scc0 .LBB11_3
	s_branch .LBB11_5
.LBB11_4:
	s_waitcnt lgkmcnt(0)
	v_mov_b32_e32 v6, s10
.LBB11_5:
	s_waitcnt vmcnt(0)
	v_div_scale_f32 v0, null, v6, v6, v5
	v_rcp_f32_e32 v3, v0
	v_fma_f32 v4, -v0, v3, 1.0
	v_fmac_f32_e32 v3, v4, v3
	v_div_scale_f32 v4, vcc_lo, v5, v6, v5
	v_mul_f32_e32 v7, v4, v3
	v_fma_f32 v8, -v0, v7, v4
	v_fmac_f32_e32 v7, v8, v3
	v_fma_f32 v0, -v0, v7, v4
	v_div_fmas_f32 v0, v0, v3, v7
	v_div_fixup_f32 v0, v0, v6, v5
	global_store_dword v[1:2], v0, off
.LBB11_6:
	s_endpgm
	.section	.rodata,"a",@progbits
	.p2align	6, 0x0
	.amdhsa_kernel _ZL33flash_attn_stream_k_fixup_uniformILi80ELi8ELi1EEvPfPK15HIP_vector_typeIfLj2EEiiiiiiS1_IjLj3EES5_S5_
		.amdhsa_group_segment_fixed_size 0
		.amdhsa_private_segment_fixed_size 0
		.amdhsa_kernarg_size 76
		.amdhsa_user_sgpr_count 6
		.amdhsa_user_sgpr_private_segment_buffer 1
		.amdhsa_user_sgpr_dispatch_ptr 0
		.amdhsa_user_sgpr_queue_ptr 0
		.amdhsa_user_sgpr_kernarg_segment_ptr 1
		.amdhsa_user_sgpr_dispatch_id 0
		.amdhsa_user_sgpr_flat_scratch_init 0
		.amdhsa_user_sgpr_private_segment_size 0
		.amdhsa_wavefront_size32 1
		.amdhsa_uses_dynamic_stack 0
		.amdhsa_system_sgpr_private_segment_wavefront_offset 0
		.amdhsa_system_sgpr_workgroup_id_x 1
		.amdhsa_system_sgpr_workgroup_id_y 1
		.amdhsa_system_sgpr_workgroup_id_z 1
		.amdhsa_system_sgpr_workgroup_info 0
		.amdhsa_system_vgpr_workitem_id 0
		.amdhsa_next_free_vgpr 15
		.amdhsa_next_free_sgpr 24
		.amdhsa_reserve_vcc 1
		.amdhsa_reserve_flat_scratch 0
		.amdhsa_float_round_mode_32 0
		.amdhsa_float_round_mode_16_64 0
		.amdhsa_float_denorm_mode_32 3
		.amdhsa_float_denorm_mode_16_64 3
		.amdhsa_dx10_clamp 1
		.amdhsa_ieee_mode 1
		.amdhsa_fp16_overflow 0
		.amdhsa_workgroup_processor_mode 1
		.amdhsa_memory_ordered 1
		.amdhsa_forward_progress 1
		.amdhsa_shared_vgpr_count 0
		.amdhsa_exception_fp_ieee_invalid_op 0
		.amdhsa_exception_fp_denorm_src 0
		.amdhsa_exception_fp_ieee_div_zero 0
		.amdhsa_exception_fp_ieee_overflow 0
		.amdhsa_exception_fp_ieee_underflow 0
		.amdhsa_exception_fp_ieee_inexact 0
		.amdhsa_exception_int_div_zero 0
	.end_amdhsa_kernel
	.section	.text._ZL33flash_attn_stream_k_fixup_uniformILi80ELi8ELi1EEvPfPK15HIP_vector_typeIfLj2EEiiiiiiS1_IjLj3EES5_S5_,"axG",@progbits,_ZL33flash_attn_stream_k_fixup_uniformILi80ELi8ELi1EEvPfPK15HIP_vector_typeIfLj2EEiiiiiiS1_IjLj3EES5_S5_,comdat
.Lfunc_end11:
	.size	_ZL33flash_attn_stream_k_fixup_uniformILi80ELi8ELi1EEvPfPK15HIP_vector_typeIfLj2EEiiiiiiS1_IjLj3EES5_S5_, .Lfunc_end11-_ZL33flash_attn_stream_k_fixup_uniformILi80ELi8ELi1EEvPfPK15HIP_vector_typeIfLj2EEiiiiiiS1_IjLj3EES5_S5_
                                        ; -- End function
	.set _ZL33flash_attn_stream_k_fixup_uniformILi80ELi8ELi1EEvPfPK15HIP_vector_typeIfLj2EEiiiiiiS1_IjLj3EES5_S5_.num_vgpr, 15
	.set _ZL33flash_attn_stream_k_fixup_uniformILi80ELi8ELi1EEvPfPK15HIP_vector_typeIfLj2EEiiiiiiS1_IjLj3EES5_S5_.num_agpr, 0
	.set _ZL33flash_attn_stream_k_fixup_uniformILi80ELi8ELi1EEvPfPK15HIP_vector_typeIfLj2EEiiiiiiS1_IjLj3EES5_S5_.numbered_sgpr, 24
	.set _ZL33flash_attn_stream_k_fixup_uniformILi80ELi8ELi1EEvPfPK15HIP_vector_typeIfLj2EEiiiiiiS1_IjLj3EES5_S5_.num_named_barrier, 0
	.set _ZL33flash_attn_stream_k_fixup_uniformILi80ELi8ELi1EEvPfPK15HIP_vector_typeIfLj2EEiiiiiiS1_IjLj3EES5_S5_.private_seg_size, 0
	.set _ZL33flash_attn_stream_k_fixup_uniformILi80ELi8ELi1EEvPfPK15HIP_vector_typeIfLj2EEiiiiiiS1_IjLj3EES5_S5_.uses_vcc, 1
	.set _ZL33flash_attn_stream_k_fixup_uniformILi80ELi8ELi1EEvPfPK15HIP_vector_typeIfLj2EEiiiiiiS1_IjLj3EES5_S5_.uses_flat_scratch, 0
	.set _ZL33flash_attn_stream_k_fixup_uniformILi80ELi8ELi1EEvPfPK15HIP_vector_typeIfLj2EEiiiiiiS1_IjLj3EES5_S5_.has_dyn_sized_stack, 0
	.set _ZL33flash_attn_stream_k_fixup_uniformILi80ELi8ELi1EEvPfPK15HIP_vector_typeIfLj2EEiiiiiiS1_IjLj3EES5_S5_.has_recursion, 0
	.set _ZL33flash_attn_stream_k_fixup_uniformILi80ELi8ELi1EEvPfPK15HIP_vector_typeIfLj2EEiiiiiiS1_IjLj3EES5_S5_.has_indirect_call, 0
	.section	.AMDGPU.csdata,"",@progbits
; Kernel info:
; codeLenInByte = 828
; TotalNumSgprs: 26
; NumVgprs: 15
; ScratchSize: 0
; MemoryBound: 0
; FloatMode: 240
; IeeeMode: 1
; LDSByteSize: 0 bytes/workgroup (compile time only)
; SGPRBlocks: 0
; VGPRBlocks: 1
; NumSGPRsForWavesPerEU: 26
; NumVGPRsForWavesPerEU: 15
; Occupancy: 16
; WaveLimiterHint : 0
; COMPUTE_PGM_RSRC2:SCRATCH_EN: 0
; COMPUTE_PGM_RSRC2:USER_SGPR: 6
; COMPUTE_PGM_RSRC2:TRAP_HANDLER: 0
; COMPUTE_PGM_RSRC2:TGID_X_EN: 1
; COMPUTE_PGM_RSRC2:TGID_Y_EN: 1
; COMPUTE_PGM_RSRC2:TGID_Z_EN: 1
; COMPUTE_PGM_RSRC2:TIDIG_COMP_CNT: 0
	.section	.text._ZL33flash_attn_stream_k_fixup_generalILi80ELi8ELi1EEvPfPK15HIP_vector_typeIfLj2EEiiiiS1_IjLj3EES5_S5_S5_,"axG",@progbits,_ZL33flash_attn_stream_k_fixup_generalILi80ELi8ELi1EEvPfPK15HIP_vector_typeIfLj2EEiiiiS1_IjLj3EES5_S5_S5_,comdat
	.globl	_ZL33flash_attn_stream_k_fixup_generalILi80ELi8ELi1EEvPfPK15HIP_vector_typeIfLj2EEiiiiS1_IjLj3EES5_S5_S5_ ; -- Begin function _ZL33flash_attn_stream_k_fixup_generalILi80ELi8ELi1EEvPfPK15HIP_vector_typeIfLj2EEiiiiS1_IjLj3EES5_S5_S5_
	.p2align	8
	.type	_ZL33flash_attn_stream_k_fixup_generalILi80ELi8ELi1EEvPfPK15HIP_vector_typeIfLj2EEiiiiS1_IjLj3EES5_S5_S5_,@function
_ZL33flash_attn_stream_k_fixup_generalILi80ELi8ELi1EEvPfPK15HIP_vector_typeIfLj2EEiiiiS1_IjLj3EES5_S5_S5_: ; @_ZL33flash_attn_stream_k_fixup_generalILi80ELi8ELi1EEvPfPK15HIP_vector_typeIfLj2EEiiiiS1_IjLj3EES5_S5_S5_
; %bb.0:
	s_clause 0x1
	s_load_dwordx4 s[0:3], s[4:5], 0x10
	s_load_dword s9, s[4:5], 0x50
	s_mov_b32 s16, 0
	s_waitcnt lgkmcnt(0)
	s_mul_hi_i32 s17, s3, s6
	s_mul_i32 s18, s3, s6
	s_cmp_lg_u64 s[16:17], 0
	s_cbranch_scc0 .LBB12_21
; %bb.1:
	s_add_u32 s10, s9, 0
	s_addc_u32 s11, 0, 0
	s_xor_b64 s[10:11], s[10:11], 0
	v_cvt_f32_u32_e32 v1, s10
	v_cvt_f32_u32_e32 v2, s11
	s_sub_u32 s14, 0, s10
	s_subb_u32 s15, 0, s11
	v_fmamk_f32 v1, v2, 0x4f800000, v1
	v_rcp_f32_e32 v1, v1
	v_mul_f32_e32 v1, 0x5f7ffffc, v1
	v_mul_f32_e32 v2, 0x2f800000, v1
	v_trunc_f32_e32 v2, v2
	v_fmamk_f32 v1, v2, 0xcf800000, v1
	v_cvt_u32_f32_e32 v2, v2
	v_cvt_u32_f32_e32 v1, v1
	v_readfirstlane_b32 s12, v2
	v_readfirstlane_b32 s13, v1
	s_mul_i32 s19, s14, s12
	s_mul_hi_u32 s21, s14, s13
	s_mul_i32 s20, s15, s13
	s_add_i32 s19, s21, s19
	s_mul_i32 s22, s14, s13
	s_add_i32 s19, s19, s20
	s_mul_hi_u32 s21, s13, s22
	s_mul_i32 s24, s13, s19
	s_mul_hi_u32 s23, s12, s22
	s_mul_i32 s20, s12, s22
	s_mul_hi_u32 s22, s13, s19
	s_add_u32 s21, s21, s24
	s_addc_u32 s22, 0, s22
	s_mul_hi_u32 s25, s12, s19
	s_add_u32 s20, s21, s20
	s_mul_i32 s19, s12, s19
	s_addc_u32 s20, s22, s23
	s_addc_u32 s21, s25, 0
	s_add_u32 s19, s20, s19
	s_addc_u32 s20, 0, s21
	s_add_u32 s13, s13, s19
	s_cselect_b32 s19, -1, 0
	s_mul_hi_u32 s21, s14, s13
	s_cmp_lg_u32 s19, 0
	s_mul_i32 s19, s14, s13
	s_addc_u32 s12, s12, s20
	s_mul_i32 s15, s15, s13
	s_mul_i32 s14, s14, s12
	s_mul_hi_u32 s20, s13, s19
	s_add_i32 s14, s21, s14
	s_mul_hi_u32 s21, s12, s19
	s_add_i32 s14, s14, s15
	s_mul_i32 s15, s12, s19
	s_mul_i32 s23, s13, s14
	s_mul_hi_u32 s22, s13, s14
	s_add_u32 s20, s20, s23
	s_addc_u32 s22, 0, s22
	s_mul_hi_u32 s19, s12, s14
	s_add_u32 s15, s20, s15
	s_mul_i32 s14, s12, s14
	s_addc_u32 s15, s22, s21
	s_addc_u32 s19, s19, 0
	s_add_u32 s14, s15, s14
	s_addc_u32 s15, 0, s19
	s_add_u32 s19, s13, s14
	s_cselect_b32 s13, -1, 0
	s_cmp_lg_u32 s13, 0
	s_addc_u32 s20, s12, s15
	s_ashr_i32 s12, s17, 31
	s_add_u32 s14, s18, s12
	s_mov_b32 s13, s12
	s_addc_u32 s15, s17, s12
	s_xor_b64 s[14:15], s[14:15], s[12:13]
	s_mul_i32 s21, s14, s20
	s_mul_hi_u32 s22, s14, s19
	s_mul_hi_u32 s17, s14, s20
	;; [unrolled: 1-line block ×3, first 2 shown]
	s_mul_i32 s19, s15, s19
	s_add_u32 s21, s22, s21
	s_addc_u32 s17, 0, s17
	s_mul_hi_u32 s23, s15, s20
	s_add_u32 s19, s21, s19
	s_mul_i32 s20, s15, s20
	s_addc_u32 s17, s17, s24
	s_addc_u32 s19, s23, 0
	s_add_u32 s17, s17, s20
	s_addc_u32 s19, 0, s19
	s_mul_hi_u32 s20, s10, s17
	s_mul_i32 s21, s10, s19
	s_mul_i32 s22, s11, s17
	s_add_i32 s20, s20, s21
	s_mul_i32 s21, s10, s17
	s_add_i32 s20, s20, s22
	s_sub_i32 s22, s15, s20
	s_sub_u32 s14, s14, s21
	s_cselect_b32 s21, -1, 0
	s_cmp_lg_u32 s21, 0
	s_subb_u32 s22, s22, s11
	s_sub_u32 s23, s14, s10
	s_cselect_b32 s24, -1, 0
	s_cmp_lg_u32 s24, 0
	s_subb_u32 s22, s22, 0
	s_cmp_ge_u32 s22, s11
	s_cselect_b32 s24, -1, 0
	s_cmp_ge_u32 s23, s10
	s_cselect_b32 s23, -1, 0
	s_cmp_eq_u32 s22, s11
	s_cselect_b32 s22, s23, s24
	s_add_u32 s23, s17, 1
	s_addc_u32 s24, s19, 0
	s_add_u32 s25, s17, 2
	s_addc_u32 s26, s19, 0
	s_cmp_lg_u32 s22, 0
	s_cselect_b32 s22, s25, s23
	s_cselect_b32 s23, s26, s24
	s_cmp_lg_u32 s21, 0
	s_subb_u32 s15, s15, s20
	s_cmp_ge_u32 s15, s11
	s_cselect_b32 s20, -1, 0
	s_cmp_ge_u32 s14, s10
	s_cselect_b32 s10, -1, 0
	s_cmp_eq_u32 s15, s11
	s_cselect_b32 s10, s10, s20
	s_cmp_lg_u32 s10, 0
	s_cselect_b32 s11, s23, s19
	s_cselect_b32 s10, s22, s17
	s_xor_b64 s[12:13], s[12:13], 0
	s_xor_b64 s[10:11], s[10:11], s[12:13]
	s_sub_u32 s10, s10, s12
	s_load_dwordx4 s[12:15], s[4:5], 0x44
	s_andn2_b32 vcc_lo, exec_lo, s16
	s_cbranch_vccnz .LBB12_3
.LBB12_2:
	v_cvt_f32_u32_e32 v1, s9
	s_sub_i32 s11, 0, s9
	v_rcp_iflag_f32_e32 v1, v1
	v_mul_f32_e32 v1, 0x4f7ffffe, v1
	v_cvt_u32_f32_e32 v1, v1
	v_readfirstlane_b32 s10, v1
	s_mul_i32 s11, s11, s10
	s_mul_hi_u32 s11, s10, s11
	s_add_i32 s10, s10, s11
	s_mul_hi_u32 s10, s18, s10
	s_mul_i32 s11, s10, s9
	s_waitcnt lgkmcnt(0)
	s_add_i32 s15, s10, 1
	s_sub_i32 s11, s18, s11
	s_sub_i32 s16, s11, s9
	s_cmp_ge_u32 s11, s9
	s_cselect_b32 s10, s15, s10
	s_cselect_b32 s11, s16, s11
	s_add_i32 s15, s10, 1
	s_cmp_ge_u32 s11, s9
	s_cselect_b32 s10, s15, s10
.LBB12_3:
	s_add_i32 s11, s6, 1
	s_mov_b32 s16, 0
	s_mul_hi_i32 s17, s3, s11
	s_mul_i32 s11, s3, s11
	s_cmp_lg_u64 s[16:17], 0
	s_cbranch_scc0 .LBB12_22
; %bb.4:
	s_add_u32 s18, s9, 0
	s_addc_u32 s19, 0, 0
	s_xor_b64 s[18:19], s[18:19], 0
	v_cvt_f32_u32_e32 v1, s18
	v_cvt_f32_u32_e32 v2, s19
	s_sub_u32 s21, 0, s18
	s_subb_u32 s22, 0, s19
	v_fmamk_f32 v1, v2, 0x4f800000, v1
	v_rcp_f32_e32 v1, v1
	v_mul_f32_e32 v1, 0x5f7ffffc, v1
	v_mul_f32_e32 v2, 0x2f800000, v1
	v_trunc_f32_e32 v2, v2
	v_fmamk_f32 v1, v2, 0xcf800000, v1
	v_cvt_u32_f32_e32 v2, v2
	v_cvt_u32_f32_e32 v1, v1
	s_waitcnt lgkmcnt(0)
	v_readfirstlane_b32 s15, v2
	v_readfirstlane_b32 s20, v1
	s_mul_i32 s23, s21, s15
	s_mul_hi_u32 s25, s21, s20
	s_mul_i32 s24, s22, s20
	s_add_i32 s23, s25, s23
	s_mul_i32 s26, s21, s20
	s_add_i32 s23, s23, s24
	s_mul_hi_u32 s25, s20, s26
	s_mul_i32 s28, s20, s23
	s_mul_hi_u32 s27, s15, s26
	s_mul_i32 s24, s15, s26
	s_mul_hi_u32 s26, s20, s23
	s_add_u32 s25, s25, s28
	s_addc_u32 s26, 0, s26
	s_mul_hi_u32 s29, s15, s23
	s_add_u32 s24, s25, s24
	s_mul_i32 s23, s15, s23
	s_addc_u32 s24, s26, s27
	s_addc_u32 s25, s29, 0
	s_add_u32 s23, s24, s23
	s_addc_u32 s24, 0, s25
	s_add_u32 s20, s20, s23
	s_cselect_b32 s23, -1, 0
	s_mul_hi_u32 s25, s21, s20
	s_cmp_lg_u32 s23, 0
	s_mul_i32 s23, s21, s20
	s_addc_u32 s15, s15, s24
	s_mul_i32 s22, s22, s20
	s_mul_i32 s21, s21, s15
	s_mul_hi_u32 s24, s20, s23
	s_add_i32 s21, s25, s21
	s_mul_hi_u32 s25, s15, s23
	s_add_i32 s21, s21, s22
	s_mul_i32 s22, s15, s23
	s_mul_i32 s27, s20, s21
	s_mul_hi_u32 s26, s20, s21
	s_add_u32 s24, s24, s27
	s_addc_u32 s26, 0, s26
	s_mul_hi_u32 s23, s15, s21
	s_add_u32 s22, s24, s22
	s_mul_i32 s21, s15, s21
	s_addc_u32 s22, s26, s25
	s_addc_u32 s23, s23, 0
	s_add_u32 s21, s22, s21
	s_addc_u32 s22, 0, s23
	s_add_u32 s24, s20, s21
	s_cselect_b32 s20, -1, 0
	s_cmp_lg_u32 s20, 0
	s_addc_u32 s15, s15, s22
	s_ashr_i32 s20, s17, 31
	s_add_u32 s22, s11, s20
	s_mov_b32 s21, s20
	s_addc_u32 s23, s17, s20
	s_xor_b64 s[22:23], s[22:23], s[20:21]
	s_mul_i32 s25, s22, s15
	s_mul_hi_u32 s26, s22, s24
	s_mul_hi_u32 s17, s22, s15
	;; [unrolled: 1-line block ×3, first 2 shown]
	s_mul_i32 s24, s23, s24
	s_add_u32 s25, s26, s25
	s_addc_u32 s17, 0, s17
	s_mul_hi_u32 s27, s23, s15
	s_add_u32 s24, s25, s24
	s_mul_i32 s15, s23, s15
	s_addc_u32 s17, s17, s28
	s_addc_u32 s24, s27, 0
	s_add_u32 s15, s17, s15
	s_addc_u32 s17, 0, s24
	s_mul_hi_u32 s24, s18, s15
	s_mul_i32 s25, s18, s17
	s_mul_i32 s26, s19, s15
	s_add_i32 s24, s24, s25
	s_mul_i32 s25, s18, s15
	s_add_i32 s24, s24, s26
	s_sub_i32 s26, s23, s24
	s_sub_u32 s22, s22, s25
	s_cselect_b32 s25, -1, 0
	s_cmp_lg_u32 s25, 0
	s_subb_u32 s26, s26, s19
	s_sub_u32 s27, s22, s18
	s_cselect_b32 s28, -1, 0
	s_cmp_lg_u32 s28, 0
	s_subb_u32 s26, s26, 0
	s_cmp_ge_u32 s26, s19
	s_cselect_b32 s28, -1, 0
	s_cmp_ge_u32 s27, s18
	s_cselect_b32 s27, -1, 0
	s_cmp_eq_u32 s26, s19
	s_cselect_b32 s26, s27, s28
	s_add_u32 s27, s15, 1
	s_addc_u32 s28, s17, 0
	s_add_u32 s29, s15, 2
	s_addc_u32 s30, s17, 0
	s_cmp_lg_u32 s26, 0
	s_cselect_b32 s26, s29, s27
	s_cselect_b32 s27, s30, s28
	s_cmp_lg_u32 s25, 0
	s_subb_u32 s23, s23, s24
	s_cmp_ge_u32 s23, s19
	s_cselect_b32 s24, -1, 0
	s_cmp_ge_u32 s22, s18
	s_cselect_b32 s18, -1, 0
	s_cmp_eq_u32 s23, s19
	s_cselect_b32 s18, s18, s24
	s_cmp_lg_u32 s18, 0
	s_cselect_b32 s19, s27, s17
	s_cselect_b32 s18, s26, s15
	s_xor_b64 s[20:21], s[20:21], 0
	s_xor_b64 s[18:19], s[18:19], s[20:21]
	s_sub_u32 s18, s18, s20
	s_andn2_b32 vcc_lo, exec_lo, s16
	s_cbranch_vccnz .LBB12_6
.LBB12_5:
	v_cvt_f32_u32_e32 v1, s9
	s_sub_i32 s16, 0, s9
	v_rcp_iflag_f32_e32 v1, v1
	v_mul_f32_e32 v1, 0x4f7ffffe, v1
	v_cvt_u32_f32_e32 v1, v1
	s_waitcnt lgkmcnt(0)
	v_readfirstlane_b32 s15, v1
	s_mul_i32 s16, s16, s15
	s_mul_hi_u32 s16, s15, s16
	s_add_i32 s15, s15, s16
	s_mul_hi_u32 s15, s11, s15
	s_mul_i32 s16, s15, s9
	s_sub_i32 s11, s11, s16
	s_add_i32 s16, s15, 1
	s_sub_i32 s17, s11, s9
	s_cmp_ge_u32 s11, s9
	s_cselect_b32 s15, s16, s15
	s_cselect_b32 s11, s17, s11
	s_add_i32 s16, s15, 1
	s_cmp_ge_u32 s11, s9
	s_cselect_b32 s18, s16, s15
.LBB12_6:
	s_cmp_eq_u32 s10, s18
	s_waitcnt lgkmcnt(0)
	s_mul_hi_u32 s11, s10, s12
	s_cselect_b32 s15, -1, 0
	s_add_i32 s11, s11, s10
	s_lshr_b32 s11, s11, s13
	s_mul_i32 s16, s11, s14
	s_cmp_eq_u32 s16, s10
	s_mul_hi_u32 s16, s18, s12
	s_cselect_b32 s17, -1, 0
	s_add_i32 s16, s16, s18
	s_lshr_b32 s16, s16, s13
	s_cmp_eq_u32 s11, s16
	s_mul_i32 s16, s16, s14
	s_cselect_b32 s19, -1, 0
	s_cmp_lg_u32 s16, s18
	s_cselect_b32 s16, -1, 0
	s_or_b32 s15, s15, s17
	s_and_b32 s16, s19, s16
	s_or_b32 s15, s15, s16
	s_and_b32 vcc_lo, exec_lo, s15
	s_cbranch_vccnz .LBB12_24
; %bb.7:
	s_clause 0x1
	s_load_dwordx8 s[20:27], s[4:5], 0x20
	s_load_dword s16, s[4:5], 0x40
	s_waitcnt lgkmcnt(0)
	s_mul_hi_u32 s15, s10, s20
	s_add_i32 s15, s15, s10
	s_lshr_b32 s15, s15, s21
	s_mul_i32 s17, s15, s22
	s_sub_i32 s17, s10, s17
	s_mul_hi_u32 s18, s17, s23
	s_add_i32 s18, s17, s18
	s_lshr_b32 s21, s18, s24
	s_mul_i32 s18, s21, s25
	s_sub_i32 s17, s17, s18
	;; [unrolled: 5-line block ×3, first 2 shown]
	s_mul_hi_u32 s17, s16, s12
	s_add_i32 s16, s16, s17
	s_lshr_b32 s20, s16, s13
	s_lshl_b32 s16, s20, 3
	s_add_i32 s16, s16, s7
	s_cmp_lt_i32 s16, s0
	s_cselect_b32 s16, -1, 0
	s_add_i32 s22, s22, s8
	s_cmp_lt_i32 s22, s2
	s_cselect_b32 s17, -1, 0
	s_and_b32 s16, s16, s17
	s_andn2_b32 vcc_lo, exec_lo, s16
	s_cbranch_vccnz .LBB12_24
; %bb.8:
	s_load_dwordx4 s[16:19], s[4:5], 0x0
	s_mov_b32 s4, 0
	s_lshl_b32 s24, s9, 5
	s_mov_b32 s25, s4
	s_add_i32 s8, s7, s8
	s_lshl_b64 s[24:25], s[24:25], 2
	s_mul_i32 s0, s15, s0
	s_mul_i32 s21, s21, s2
	v_cvt_f32_u32_e32 v3, s9
	v_rcp_iflag_f32_e32 v3, v3
	s_waitcnt lgkmcnt(0)
	s_add_u32 s2, s18, s24
	s_addc_u32 s15, s19, s25
	s_add_i32 s0, s0, s7
	s_add_i32 s5, s22, s21
	s_mul_i32 s0, s0, s1
	s_mul_i32 s1, s1, s20
	s_add_i32 s0, s5, s0
	s_mulk_i32 s1, 0x280
	s_mulk_i32 s0, 0x50
	v_mul_f32_e32 v7, 0x4f7ffffe, v3
	v_add3_u32 v1, s1, s0, v0
	s_lshl_b32 s0, s6, 3
	s_add_i32 s0, s0, s8
	v_ashrrev_i32_e32 v2, 31, v1
	s_ashr_i32 s1, s0, 31
	s_lshl_b64 s[0:1], s[0:1], 3
	v_lshlrev_b64 v[1:2], 2, v[1:2]
	s_add_u32 s0, s18, s0
	s_addc_u32 s1, s19, s1
	s_load_dwordx2 s[0:1], s[0:1], 0x0
	v_add_co_u32 v1, vcc_lo, s16, v1
	v_add_co_ci_u32_e64 v2, null, s17, v2, vcc_lo
	s_add_i32 s17, s6, -1
	v_mad_u64_u32 v[3:4], null, 0x50, s8, v[0:1]
	global_load_dword v5, v[1:2], off
	v_cvt_u32_f32_e32 v0, v7
	s_sub_i32 s16, 0, s9
	s_waitcnt lgkmcnt(0)
	v_mov_b32_e32 v4, s1
	v_mov_b32_e32 v6, s0
.LBB12_9:                               ; =>This Inner Loop Header: Depth=1
	s_mul_hi_i32 s5, s17, s3
	s_mul_i32 s6, s17, s3
	s_cmp_lg_u64 s[4:5], 0
	s_mov_b32 s7, -1
                                        ; implicit-def: $sgpr0_sgpr1
	s_cbranch_scc0 .LBB12_11
; %bb.10:                               ;   in Loop: Header=BB12_9 Depth=1
	s_add_u32 s0, s9, 0
	s_addc_u32 s1, 0, 0
	s_xor_b64 s[0:1], s[0:1], 0
	v_cvt_f32_u32_e32 v7, s0
	v_cvt_f32_u32_e32 v8, s1
	s_sub_u32 s21, 0, s0
	s_subb_u32 s22, 0, s1
	v_fmac_f32_e32 v7, 0x4f800000, v8
	v_rcp_f32_e32 v7, v7
	v_mul_f32_e32 v7, 0x5f7ffffc, v7
	v_mul_f32_e32 v8, 0x2f800000, v7
	v_trunc_f32_e32 v8, v8
	v_fmac_f32_e32 v7, 0xcf800000, v8
	v_cvt_u32_f32_e32 v8, v8
	v_cvt_u32_f32_e32 v7, v7
	v_readfirstlane_b32 s7, v8
	v_readfirstlane_b32 s20, v7
	s_mul_i32 s23, s21, s7
	s_mul_hi_u32 s25, s21, s20
	s_mul_i32 s24, s22, s20
	s_add_i32 s23, s25, s23
	s_mul_i32 s26, s21, s20
	s_add_i32 s23, s23, s24
	s_mul_hi_u32 s25, s20, s26
	s_mul_i32 s28, s20, s23
	s_mul_hi_u32 s27, s7, s26
	s_mul_i32 s24, s7, s26
	s_mul_hi_u32 s26, s20, s23
	s_add_u32 s25, s25, s28
	s_addc_u32 s26, 0, s26
	s_mul_hi_u32 s29, s7, s23
	s_add_u32 s24, s25, s24
	s_mul_i32 s23, s7, s23
	s_addc_u32 s24, s26, s27
	s_addc_u32 s25, s29, 0
	s_add_u32 s23, s24, s23
	s_addc_u32 s24, 0, s25
	s_add_u32 s20, s20, s23
	s_cselect_b32 s23, -1, 0
	s_mul_hi_u32 s25, s21, s20
	s_cmp_lg_u32 s23, 0
	s_mul_i32 s23, s21, s20
	s_addc_u32 s7, s7, s24
	s_mul_i32 s22, s22, s20
	s_mul_i32 s21, s21, s7
	s_mul_hi_u32 s24, s20, s23
	s_add_i32 s21, s25, s21
	s_mul_hi_u32 s25, s7, s23
	s_add_i32 s21, s21, s22
	s_mul_i32 s22, s7, s23
	s_mul_i32 s27, s20, s21
	s_mul_hi_u32 s26, s20, s21
	s_add_u32 s24, s24, s27
	s_addc_u32 s26, 0, s26
	s_mul_hi_u32 s23, s7, s21
	s_add_u32 s22, s24, s22
	s_mul_i32 s21, s7, s21
	s_addc_u32 s22, s26, s25
	s_addc_u32 s23, s23, 0
	s_add_u32 s21, s22, s21
	s_addc_u32 s22, 0, s23
	s_add_u32 s24, s20, s21
	s_cselect_b32 s20, -1, 0
	s_cmp_lg_u32 s20, 0
	s_addc_u32 s7, s7, s22
	s_ashr_i32 s20, s5, 31
	s_add_u32 s22, s6, s20
	s_mov_b32 s21, s20
	s_addc_u32 s23, s5, s20
	s_xor_b64 s[22:23], s[22:23], s[20:21]
	s_mul_i32 s25, s22, s7
	s_mul_hi_u32 s26, s22, s24
	s_mul_hi_u32 s5, s22, s7
	;; [unrolled: 1-line block ×3, first 2 shown]
	s_mul_i32 s24, s23, s24
	s_add_u32 s25, s26, s25
	s_addc_u32 s5, 0, s5
	s_mul_hi_u32 s27, s23, s7
	s_add_u32 s24, s25, s24
	s_mul_i32 s7, s23, s7
	s_addc_u32 s5, s5, s28
	s_addc_u32 s24, s27, 0
	s_add_u32 s5, s5, s7
	s_addc_u32 s7, 0, s24
	s_mul_hi_u32 s24, s0, s5
	s_mul_i32 s25, s0, s7
	s_mul_i32 s26, s1, s5
	s_add_i32 s24, s24, s25
	s_mul_i32 s25, s0, s5
	s_add_i32 s24, s24, s26
	s_sub_i32 s26, s23, s24
	s_sub_u32 s22, s22, s25
	s_cselect_b32 s25, -1, 0
	s_cmp_lg_u32 s25, 0
	s_subb_u32 s26, s26, s1
	s_sub_u32 s27, s22, s0
	s_cselect_b32 s28, -1, 0
	s_cmp_lg_u32 s28, 0
	s_subb_u32 s26, s26, 0
	s_cmp_ge_u32 s26, s1
	s_cselect_b32 s28, -1, 0
	s_cmp_ge_u32 s27, s0
	s_cselect_b32 s27, -1, 0
	s_cmp_eq_u32 s26, s1
	s_cselect_b32 s26, s27, s28
	s_add_u32 s27, s5, 1
	s_addc_u32 s28, s7, 0
	s_add_u32 s29, s5, 2
	s_addc_u32 s30, s7, 0
	s_cmp_lg_u32 s26, 0
	s_cselect_b32 s26, s29, s27
	s_cselect_b32 s27, s30, s28
	s_cmp_lg_u32 s25, 0
	s_subb_u32 s23, s23, s24
	s_cmp_ge_u32 s23, s1
	s_cselect_b32 s24, -1, 0
	s_cmp_ge_u32 s22, s0
	s_cselect_b32 s0, -1, 0
	s_cmp_eq_u32 s23, s1
	s_cselect_b32 s0, s0, s24
	s_cmp_lg_u32 s0, 0
	s_cselect_b32 s1, s27, s7
	s_cselect_b32 s0, s26, s5
	s_xor_b64 s[20:21], s[20:21], 0
	s_mov_b32 s7, 0
	s_xor_b64 s[0:1], s[0:1], s[20:21]
	s_sub_u32 s0, s0, s20
.LBB12_11:                              ;   in Loop: Header=BB12_9 Depth=1
	s_andn2_b32 vcc_lo, exec_lo, s7
	s_cbranch_vccnz .LBB12_13
; %bb.12:                               ;   in Loop: Header=BB12_9 Depth=1
	v_readfirstlane_b32 s0, v0
	s_mul_i32 s1, s16, s0
	s_mul_hi_u32 s1, s0, s1
	s_add_i32 s0, s0, s1
	s_mul_hi_u32 s0, s6, s0
	s_mul_i32 s1, s0, s9
	s_add_i32 s5, s0, 1
	s_sub_i32 s1, s6, s1
	s_sub_i32 s6, s1, s9
	s_cmp_ge_u32 s1, s9
	s_cselect_b32 s0, s5, s0
	s_cselect_b32 s1, s6, s1
	s_add_i32 s5, s0, 1
	s_cmp_ge_u32 s1, s9
	s_cselect_b32 s0, s5, s0
.LBB12_13:                              ;   in Loop: Header=BB12_9 Depth=1
	s_cmp_lg_u32 s10, s0
	s_mov_b32 s6, -1
                                        ; implicit-def: $sgpr5
                                        ; implicit-def: $vgpr8
                                        ; implicit-def: $vgpr7
                                        ; implicit-def: $vgpr9
                                        ; implicit-def: $sgpr1
                                        ; implicit-def: $sgpr20
	s_cbranch_scc0 .LBB12_18
; %bb.14:                               ;   in Loop: Header=BB12_9 Depth=1
	s_add_i32 s1, s17, s9
	s_mov_b32 s7, s4
	s_lshl_b32 s1, s1, 3
	s_mov_b32 s20, s10
	s_add_i32 s6, s1, s8
	s_mul_hi_u32 s1, s0, s12
	s_lshl_b64 s[6:7], s[6:7], 3
	s_add_u32 s6, s18, s6
	s_addc_u32 s7, s19, s7
	s_add_i32 s1, s1, s0
	s_lshr_b32 s1, s1, s13
	s_mul_i32 s5, s1, s14
	s_cmp_eq_u32 s5, s0
	s_cselect_b32 s5, -1, 0
	s_cmp_lt_u32 s1, s11
	s_cselect_b32 s1, -1, 0
	s_or_b32 s1, s1, s5
	s_mov_b32 s5, -1
	s_and_b32 vcc_lo, exec_lo, s1
	s_mov_b32 s1, s17
	s_cbranch_vccnz .LBB12_16
; %bb.15:                               ;   in Loop: Header=BB12_9 Depth=1
	s_add_i32 s1, s17, -1
	s_mov_b32 s5, 0
	s_mov_b32 s20, s0
.LBB12_16:                              ;   in Loop: Header=BB12_9 Depth=1
	v_mad_u64_u32 v[7:8], null, 0x280, s17, v[3:4]
	s_load_dwordx2 s[6:7], s[6:7], 0x0
	v_ashrrev_i32_e32 v8, 31, v7
	v_lshlrev_b64 v[7:8], 2, v[7:8]
	v_add_co_u32 v7, vcc_lo, s2, v7
	v_add_co_ci_u32_e64 v8, null, s15, v8, vcc_lo
	s_waitcnt lgkmcnt(0)
	v_max_f32_e64 v9, s6, s6
	global_load_dword v8, v[7:8], off
	v_max_f32_e32 v7, v6, v6
	v_max_f32_e32 v7, v7, v9
	v_sub_f32_e32 v9, s6, v7
	v_sub_f32_e32 v10, v6, v7
	v_mul_f32_e32 v11, 0x3fb8aa3b, v9
	v_mul_f32_e32 v12, 0x3fb8aa3b, v10
	v_cmp_ngt_f32_e32 vcc_lo, 0xc2ce8ed0, v9
	v_fma_f32 v13, 0x3fb8aa3b, v9, -v11
	v_rndne_f32_e32 v14, v11
	v_fma_f32 v15, 0x3fb8aa3b, v10, -v12
	v_rndne_f32_e32 v16, v12
	v_fmac_f32_e32 v13, 0x32a5705f, v9
	v_sub_f32_e32 v11, v11, v14
	v_fmac_f32_e32 v15, 0x32a5705f, v10
	v_sub_f32_e32 v12, v12, v16
	v_add_f32_e32 v11, v11, v13
	v_cvt_i32_f32_e32 v13, v14
	v_add_f32_e32 v12, v12, v15
	v_cvt_i32_f32_e32 v14, v16
	v_exp_f32_e32 v11, v11
	v_exp_f32_e32 v12, v12
	v_ldexp_f32 v11, v11, v13
	v_ldexp_f32 v12, v12, v14
	v_cndmask_b32_e32 v11, 0, v11, vcc_lo
	v_cmp_ngt_f32_e32 vcc_lo, 0xc2ce8ed0, v10
	v_cndmask_b32_e32 v12, 0, v12, vcc_lo
	v_cmp_nlt_f32_e32 vcc_lo, 0x42b17218, v9
	v_cndmask_b32_e32 v11, 0x7f800000, v11, vcc_lo
	v_cmp_nlt_f32_e32 vcc_lo, 0x42b17218, v10
	v_cndmask_b32_e32 v12, 0x7f800000, v12, vcc_lo
	v_cmp_le_f32_e32 vcc_lo, 0xc1a00000, v9
	v_cndmask_b32_e32 v9, 0, v11, vcc_lo
	v_cmp_le_f32_e32 vcc_lo, 0xc1a00000, v10
	v_cndmask_b32_e32 v10, 0, v12, vcc_lo
	s_waitcnt vmcnt(0)
	v_mul_f32_e32 v8, v8, v9
	v_mul_f32_e32 v9, s7, v9
	v_fmac_f32_e32 v8, v5, v10
	v_fmac_f32_e32 v9, v4, v10
	s_cbranch_execz .LBB12_19
.LBB12_17:                              ;   in Loop: Header=BB12_9 Depth=1
	s_andn2_b32 vcc_lo, exec_lo, s5
	s_cbranch_vccnz .LBB12_20
	s_branch .LBB12_23
.LBB12_18:                              ;   in Loop: Header=BB12_9 Depth=1
	s_andn2_b32 vcc_lo, exec_lo, s6
	s_cbranch_vccnz .LBB12_17
.LBB12_19:                              ;   in Loop: Header=BB12_9 Depth=1
	v_mov_b32_e32 v9, v4
	v_mov_b32_e32 v7, v6
	s_waitcnt vmcnt(0)
	v_mov_b32_e32 v8, v5
	s_add_i32 s1, s17, -1
	s_mov_b32 s20, s10
	s_cbranch_execz .LBB12_23
.LBB12_20:                              ;   in Loop: Header=BB12_9 Depth=1
	v_mov_b32_e32 v4, v9
	v_mov_b32_e32 v6, v7
	s_waitcnt vmcnt(0)
	v_mov_b32_e32 v5, v8
	s_mov_b32 s10, s20
	s_mov_b32 s17, s1
	s_branch .LBB12_9
.LBB12_21:
                                        ; implicit-def: $sgpr10_sgpr11
	s_load_dwordx4 s[12:15], s[4:5], 0x44
	s_branch .LBB12_2
.LBB12_22:
                                        ; implicit-def: $sgpr18_sgpr19
	s_branch .LBB12_5
.LBB12_23:
	v_div_scale_f32 v0, null, v9, v9, v8
	v_rcp_f32_e32 v3, v0
	v_fma_f32 v4, -v0, v3, 1.0
	v_fmac_f32_e32 v3, v4, v3
	v_div_scale_f32 v4, vcc_lo, v8, v9, v8
	s_waitcnt vmcnt(0)
	v_mul_f32_e32 v5, v4, v3
	v_fma_f32 v6, -v0, v5, v4
	v_fmac_f32_e32 v5, v6, v3
	v_fma_f32 v0, -v0, v5, v4
	v_div_fmas_f32 v0, v0, v3, v5
	v_div_fixup_f32 v0, v0, v9, v8
	global_store_dword v[1:2], v0, off
.LBB12_24:
	s_endpgm
	.section	.rodata,"a",@progbits
	.p2align	6, 0x0
	.amdhsa_kernel _ZL33flash_attn_stream_k_fixup_generalILi80ELi8ELi1EEvPfPK15HIP_vector_typeIfLj2EEiiiiS1_IjLj3EES5_S5_S5_
		.amdhsa_group_segment_fixed_size 0
		.amdhsa_private_segment_fixed_size 0
		.amdhsa_kernarg_size 336
		.amdhsa_user_sgpr_count 6
		.amdhsa_user_sgpr_private_segment_buffer 1
		.amdhsa_user_sgpr_dispatch_ptr 0
		.amdhsa_user_sgpr_queue_ptr 0
		.amdhsa_user_sgpr_kernarg_segment_ptr 1
		.amdhsa_user_sgpr_dispatch_id 0
		.amdhsa_user_sgpr_flat_scratch_init 0
		.amdhsa_user_sgpr_private_segment_size 0
		.amdhsa_wavefront_size32 1
		.amdhsa_uses_dynamic_stack 0
		.amdhsa_system_sgpr_private_segment_wavefront_offset 0
		.amdhsa_system_sgpr_workgroup_id_x 1
		.amdhsa_system_sgpr_workgroup_id_y 1
		.amdhsa_system_sgpr_workgroup_id_z 1
		.amdhsa_system_sgpr_workgroup_info 0
		.amdhsa_system_vgpr_workitem_id 0
		.amdhsa_next_free_vgpr 17
		.amdhsa_next_free_sgpr 31
		.amdhsa_reserve_vcc 1
		.amdhsa_reserve_flat_scratch 0
		.amdhsa_float_round_mode_32 0
		.amdhsa_float_round_mode_16_64 0
		.amdhsa_float_denorm_mode_32 3
		.amdhsa_float_denorm_mode_16_64 3
		.amdhsa_dx10_clamp 1
		.amdhsa_ieee_mode 1
		.amdhsa_fp16_overflow 0
		.amdhsa_workgroup_processor_mode 1
		.amdhsa_memory_ordered 1
		.amdhsa_forward_progress 1
		.amdhsa_shared_vgpr_count 0
		.amdhsa_exception_fp_ieee_invalid_op 0
		.amdhsa_exception_fp_denorm_src 0
		.amdhsa_exception_fp_ieee_div_zero 0
		.amdhsa_exception_fp_ieee_overflow 0
		.amdhsa_exception_fp_ieee_underflow 0
		.amdhsa_exception_fp_ieee_inexact 0
		.amdhsa_exception_int_div_zero 0
	.end_amdhsa_kernel
	.section	.text._ZL33flash_attn_stream_k_fixup_generalILi80ELi8ELi1EEvPfPK15HIP_vector_typeIfLj2EEiiiiS1_IjLj3EES5_S5_S5_,"axG",@progbits,_ZL33flash_attn_stream_k_fixup_generalILi80ELi8ELi1EEvPfPK15HIP_vector_typeIfLj2EEiiiiS1_IjLj3EES5_S5_S5_,comdat
.Lfunc_end12:
	.size	_ZL33flash_attn_stream_k_fixup_generalILi80ELi8ELi1EEvPfPK15HIP_vector_typeIfLj2EEiiiiS1_IjLj3EES5_S5_S5_, .Lfunc_end12-_ZL33flash_attn_stream_k_fixup_generalILi80ELi8ELi1EEvPfPK15HIP_vector_typeIfLj2EEiiiiS1_IjLj3EES5_S5_S5_
                                        ; -- End function
	.set _ZL33flash_attn_stream_k_fixup_generalILi80ELi8ELi1EEvPfPK15HIP_vector_typeIfLj2EEiiiiS1_IjLj3EES5_S5_S5_.num_vgpr, 17
	.set _ZL33flash_attn_stream_k_fixup_generalILi80ELi8ELi1EEvPfPK15HIP_vector_typeIfLj2EEiiiiS1_IjLj3EES5_S5_S5_.num_agpr, 0
	.set _ZL33flash_attn_stream_k_fixup_generalILi80ELi8ELi1EEvPfPK15HIP_vector_typeIfLj2EEiiiiS1_IjLj3EES5_S5_S5_.numbered_sgpr, 31
	.set _ZL33flash_attn_stream_k_fixup_generalILi80ELi8ELi1EEvPfPK15HIP_vector_typeIfLj2EEiiiiS1_IjLj3EES5_S5_S5_.num_named_barrier, 0
	.set _ZL33flash_attn_stream_k_fixup_generalILi80ELi8ELi1EEvPfPK15HIP_vector_typeIfLj2EEiiiiS1_IjLj3EES5_S5_S5_.private_seg_size, 0
	.set _ZL33flash_attn_stream_k_fixup_generalILi80ELi8ELi1EEvPfPK15HIP_vector_typeIfLj2EEiiiiS1_IjLj3EES5_S5_S5_.uses_vcc, 1
	.set _ZL33flash_attn_stream_k_fixup_generalILi80ELi8ELi1EEvPfPK15HIP_vector_typeIfLj2EEiiiiS1_IjLj3EES5_S5_S5_.uses_flat_scratch, 0
	.set _ZL33flash_attn_stream_k_fixup_generalILi80ELi8ELi1EEvPfPK15HIP_vector_typeIfLj2EEiiiiS1_IjLj3EES5_S5_S5_.has_dyn_sized_stack, 0
	.set _ZL33flash_attn_stream_k_fixup_generalILi80ELi8ELi1EEvPfPK15HIP_vector_typeIfLj2EEiiiiS1_IjLj3EES5_S5_S5_.has_recursion, 0
	.set _ZL33flash_attn_stream_k_fixup_generalILi80ELi8ELi1EEvPfPK15HIP_vector_typeIfLj2EEiiiiS1_IjLj3EES5_S5_S5_.has_indirect_call, 0
	.section	.AMDGPU.csdata,"",@progbits
; Kernel info:
; codeLenInByte = 2940
; TotalNumSgprs: 33
; NumVgprs: 17
; ScratchSize: 0
; MemoryBound: 0
; FloatMode: 240
; IeeeMode: 1
; LDSByteSize: 0 bytes/workgroup (compile time only)
; SGPRBlocks: 0
; VGPRBlocks: 2
; NumSGPRsForWavesPerEU: 33
; NumVGPRsForWavesPerEU: 17
; Occupancy: 16
; WaveLimiterHint : 0
; COMPUTE_PGM_RSRC2:SCRATCH_EN: 0
; COMPUTE_PGM_RSRC2:USER_SGPR: 6
; COMPUTE_PGM_RSRC2:TRAP_HANDLER: 0
; COMPUTE_PGM_RSRC2:TGID_X_EN: 1
; COMPUTE_PGM_RSRC2:TGID_Y_EN: 1
; COMPUTE_PGM_RSRC2:TGID_Z_EN: 1
; COMPUTE_PGM_RSRC2:TIDIG_COMP_CNT: 0
	.section	.text._ZL26flash_attn_combine_resultsILi80EEvPKfPK15HIP_vector_typeIfLj2EEPfi,"axG",@progbits,_ZL26flash_attn_combine_resultsILi80EEvPKfPK15HIP_vector_typeIfLj2EEPfi,comdat
	.globl	_ZL26flash_attn_combine_resultsILi80EEvPKfPK15HIP_vector_typeIfLj2EEPfi ; -- Begin function _ZL26flash_attn_combine_resultsILi80EEvPKfPK15HIP_vector_typeIfLj2EEPfi
	.p2align	8
	.type	_ZL26flash_attn_combine_resultsILi80EEvPKfPK15HIP_vector_typeIfLj2EEPfi,@function
_ZL26flash_attn_combine_resultsILi80EEvPKfPK15HIP_vector_typeIfLj2EEPfi: ; @_ZL26flash_attn_combine_resultsILi80EEvPKfPK15HIP_vector_typeIfLj2EEPfi
; %bb.0:
	s_clause 0x3
	s_load_dwordx2 s[2:3], s[4:5], 0x20
	s_load_dword s9, s[4:5], 0x18
	s_load_dwordx4 s[12:15], s[4:5], 0x0
	s_load_dwordx2 s[10:11], s[4:5], 0x10
	v_lshlrev_b32_e32 v5, 2, v0
	s_mov_b32 s4, exec_lo
	s_waitcnt lgkmcnt(0)
	s_mul_i32 s0, s2, s8
	s_lshl_b32 s1, s9, 1
	s_add_i32 s0, s0, s6
	s_mul_i32 s8, s0, s3
	s_add_i32 s8, s8, s7
	s_mul_i32 s2, s8, s9
	v_cmpx_gt_i32_e64 s1, v0
	s_cbranch_execz .LBB13_3
; %bb.1:
	s_ashr_i32 s3, s2, 31
	v_add_nc_u32_e32 v3, 0, v5
	s_lshl_b64 s[6:7], s[2:3], 3
	v_mov_b32_e32 v4, v0
	s_add_u32 s0, s14, s6
	s_addc_u32 s3, s15, s7
	v_add_co_u32 v1, s0, s0, v5
	v_add_co_ci_u32_e64 v2, null, s3, 0, s0
	s_mov_b32 s3, 0
	.p2align	6
.LBB13_2:                               ; =>This Inner Loop Header: Depth=1
	global_load_dword v6, v[1:2], off
	v_add_nc_u32_e32 v4, 0x50, v4
	v_add_co_u32 v1, vcc_lo, 0x140, v1
	v_add_co_ci_u32_e64 v2, null, 0, v2, vcc_lo
	v_cmp_le_i32_e64 s0, s1, v4
	s_or_b32 s3, s0, s3
	s_waitcnt vmcnt(0)
	ds_write_b32 v3, v6
	v_add_nc_u32_e32 v3, 0x140, v3
	s_andn2_b32 exec_lo, exec_lo, s3
	s_cbranch_execnz .LBB13_2
.LBB13_3:
	s_or_b32 exec_lo, exec_lo, s4
	v_mov_b32_e32 v1, 0
	s_waitcnt lgkmcnt(0)
	s_barrier
	buffer_gl0_inv
	s_cmp_lt_i32 s9, 2
	ds_read_b32 v6, v1
	s_cbranch_scc1 .LBB13_11
; %bb.4:
	s_add_i32 s1, s9, -2
	s_add_i32 s0, s9, -1
	s_cmp_lt_u32 s1, 7
	s_cbranch_scc1 .LBB13_8
; %bb.5:
	s_mov_b32 s3, 0
	s_add_i32 s1, 0, 8
	s_and_b32 s4, s0, -8
	.p2align	6
.LBB13_6:                               ; =>This Inner Loop Header: Depth=1
	v_mov_b32_e32 v9, s1
	s_mov_b32 s5, s3
	s_add_i32 s3, s3, 8
	s_add_i32 s1, s1, 64
	s_cmp_eq_u32 s4, s3
	ds_read2_b32 v[1:2], v9 offset1:2
	ds_read2_b32 v[3:4], v9 offset0:4 offset1:6
	ds_read2_b32 v[7:8], v9 offset0:8 offset1:10
	;; [unrolled: 1-line block ×3, first 2 shown]
	s_waitcnt lgkmcnt(3)
	v_max3_f32 v1, v6, v1, v2
	s_waitcnt lgkmcnt(2)
	v_max3_f32 v1, v1, v3, v4
	;; [unrolled: 2-line block ×4, first 2 shown]
	s_cbranch_scc0 .LBB13_6
; %bb.7:
	s_add_i32 s1, s5, 9
	s_and_b32 s0, s0, 7
	s_cmp_eq_u32 s0, 0
	s_cbranch_scc0 .LBB13_9
	s_branch .LBB13_11
.LBB13_8:
	s_mov_b32 s1, 1
	s_and_b32 s0, s0, 7
	s_cmp_eq_u32 s0, 0
	s_cbranch_scc1 .LBB13_11
.LBB13_9:
	s_lshl_b32 s1, s1, 3
	s_add_i32 s1, s1, 0
.LBB13_10:                              ; =>This Inner Loop Header: Depth=1
	v_mov_b32_e32 v1, s1
	s_waitcnt lgkmcnt(0)
	v_max_f32_e32 v2, v6, v6
	s_add_i32 s0, s0, -1
	s_add_i32 s1, s1, 8
	s_cmp_lg_u32 s0, 0
	ds_read_b32 v1, v1
	s_waitcnt lgkmcnt(0)
	v_max_f32_e32 v1, v1, v1
	v_max_f32_e32 v6, v2, v1
	s_cbranch_scc1 .LBB13_10
.LBB13_11:
	s_cmp_lt_i32 s9, 1
	s_cbranch_scc1 .LBB13_16
; %bb.12:
	s_mul_i32 s6, s2, 0x50
	s_ashr_i32 s7, s6, 31
	s_cmp_lt_u32 s9, 8
	s_cbranch_scc1 .LBB13_17
; %bb.13:
	s_lshl_b64 s[0:1], s[6:7], 2
	v_add_nc_u32_e32 v1, 0x140, v0
	v_mov_b32_e32 v4, 0
	v_mov_b32_e32 v7, 0
	;; [unrolled: 1-line block ×3, first 2 shown]
	s_add_u32 s15, s12, s0
	s_addc_u32 s16, s13, s1
	s_and_b32 s14, s9, 0x7ffffff8
	s_mov_b32 s17, 0
	s_mov_b32 s18, 0
.LBB13_14:                              ; =>This Inner Loop Header: Depth=1
	v_add_nc_u32_e32 v3, 0xfffffec0, v1
	v_mov_b32_e32 v2, v4
	s_add_i32 s17, s17, 8
	v_lshlrev_b64 v[9:10], 2, v[3:4]
	v_add_nc_u32_e32 v3, 0xffffff10, v1
	v_lshlrev_b64 v[11:12], 2, v[1:2]
	v_lshlrev_b64 v[13:14], 2, v[3:4]
	v_add_co_u32 v9, vcc_lo, s15, v9
	v_add_nc_u32_e32 v3, 0xffffff60, v1
	v_add_co_ci_u32_e64 v10, null, s16, v10, vcc_lo
	v_add_co_u32 v11, vcc_lo, s15, v11
	v_add_co_ci_u32_e64 v12, null, s16, v12, vcc_lo
	v_add_co_u32 v13, vcc_lo, s15, v13
	v_lshlrev_b64 v[15:16], 2, v[3:4]
	v_add_nc_u32_e32 v3, 0xffffffb0, v1
	v_add_co_ci_u32_e64 v14, null, s16, v14, vcc_lo
	s_clause 0x1
	global_load_dword v25, v[9:10], off
	global_load_dword v29, v[11:12], off
	v_lshlrev_b64 v[9:10], 2, v[3:4]
	global_load_dword v26, v[13:14], off
	v_add_co_u32 v13, vcc_lo, s15, v15
	v_add_nc_u32_e32 v3, 0x50, v1
	v_add_co_ci_u32_e64 v14, null, s16, v16, vcc_lo
	v_add_co_u32 v9, vcc_lo, s15, v9
	v_lshlrev_b64 v[15:16], 2, v[3:4]
	v_add_nc_u32_e32 v3, 0xa0, v1
	v_add_co_ci_u32_e64 v10, null, s16, v10, vcc_lo
	s_clause 0x1
	global_load_dword v27, v[13:14], off
	global_load_dword v28, v[9:10], off
	v_lshlrev_b64 v[13:14], 2, v[3:4]
	v_add_nc_u32_e32 v3, 0xf0, v1
	v_add_co_u32 v9, vcc_lo, s15, v15
	v_add_co_ci_u32_e64 v10, null, s16, v16, vcc_lo
	v_lshlrev_b64 v[2:3], 2, v[3:4]
	v_add_nc_u32_e32 v1, 0x280, v1
	global_load_dword v30, v[9:10], off
	v_add_co_u32 v9, vcc_lo, s15, v13
	v_add_co_ci_u32_e64 v10, null, s16, v14, vcc_lo
	v_add_co_u32 v2, vcc_lo, s15, v2
	v_add_co_ci_u32_e64 v3, null, s16, v3, vcc_lo
	s_clause 0x1
	global_load_dword v31, v[9:10], off
	global_load_dword v2, v[2:3], off
	v_mov_b32_e32 v3, s18
	ds_read2_b64 v[9:12], v3 offset1:1
	ds_read2_b64 v[13:16], v3 offset0:2 offset1:3
	ds_read2_b64 v[17:20], v3 offset0:4 offset1:5
	;; [unrolled: 1-line block ×3, first 2 shown]
	s_add_i32 s18, s18, 64
	s_cmp_eq_u32 s14, s17
	s_waitcnt lgkmcnt(3)
	v_sub_f32_e32 v3, v9, v6
	v_sub_f32_e32 v9, v11, v6
	s_waitcnt lgkmcnt(2)
	v_sub_f32_e32 v11, v13, v6
	v_sub_f32_e32 v13, v15, v6
	;; [unrolled: 3-line block ×4, first 2 shown]
	v_mul_f32_e32 v23, 0x3fb8aa3b, v3
	v_mul_f32_e32 v32, 0x3fb8aa3b, v9
	;; [unrolled: 1-line block ×5, first 2 shown]
	v_fma_f32 v39, 0x3fb8aa3b, v3, -v23
	v_rndne_f32_e32 v40, v23
	v_fma_f32 v41, 0x3fb8aa3b, v9, -v32
	v_rndne_f32_e32 v42, v32
	v_fma_f32 v43, 0x3fb8aa3b, v11, -v33
	v_fmac_f32_e32 v39, 0x32a5705f, v3
	v_sub_f32_e32 v23, v23, v40
	v_rndne_f32_e32 v44, v33
	v_fmac_f32_e32 v41, 0x32a5705f, v9
	v_sub_f32_e32 v32, v32, v42
	v_fmac_f32_e32 v43, 0x32a5705f, v11
	v_add_f32_e32 v23, v23, v39
	v_sub_f32_e32 v33, v33, v44
	v_fma_f32 v45, 0x3fb8aa3b, v13, -v34
	v_add_f32_e32 v32, v32, v41
	v_rndne_f32_e32 v46, v34
	v_exp_f32_e32 v23, v23
	v_add_f32_e32 v33, v33, v43
	v_cvt_i32_f32_e32 v40, v40
	v_exp_f32_e32 v32, v32
	v_mul_f32_e32 v36, 0x3fb8aa3b, v17
	v_fma_f32 v47, 0x3fb8aa3b, v15, -v35
	v_rndne_f32_e32 v48, v35
	v_cvt_i32_f32_e32 v42, v42
	v_fmac_f32_e32 v45, 0x32a5705f, v13
	v_sub_f32_e32 v34, v34, v46
	v_exp_f32_e32 v33, v33
	v_ldexp_f32 v23, v23, v40
	v_cmp_ngt_f32_e64 s5, 0xc2ce8ed0, v3
	v_mul_f32_e32 v37, 0x3fb8aa3b, v19
	v_fma_f32 v49, 0x3fb8aa3b, v17, -v36
	v_rndne_f32_e32 v50, v36
	v_cvt_i32_f32_e32 v44, v44
	v_fmac_f32_e32 v47, 0x32a5705f, v15
	v_sub_f32_e32 v35, v35, v48
	v_add_f32_e32 v34, v34, v45
	v_ldexp_f32 v32, v32, v42
	v_cndmask_b32_e64 v23, 0, v23, s5
	v_cmp_ngt_f32_e64 s5, 0xc2ce8ed0, v9
	v_mul_f32_e32 v38, 0x3fb8aa3b, v21
	v_fma_f32 v51, 0x3fb8aa3b, v19, -v37
	v_rndne_f32_e32 v39, v37
	v_fmac_f32_e32 v49, 0x32a5705f, v17
	v_sub_f32_e32 v36, v36, v50
	v_add_f32_e32 v35, v35, v47
	v_exp_f32_e32 v34, v34
	v_ldexp_f32 v33, v33, v44
	v_cmp_ngt_f32_e32 vcc_lo, 0xc2ce8ed0, v11
	v_cndmask_b32_e64 v32, 0, v32, s5
	v_cmp_nlt_f32_e64 s5, 0x42b17218, v3
	v_fma_f32 v41, 0x3fb8aa3b, v21, -v38
	v_rndne_f32_e32 v43, v38
	v_cvt_i32_f32_e32 v46, v46
	v_fmac_f32_e32 v51, 0x32a5705f, v19
	v_sub_f32_e32 v37, v37, v39
	v_add_f32_e32 v36, v36, v49
	v_exp_f32_e32 v35, v35
	v_cndmask_b32_e64 v3, 0x7f800000, v23, s5
	v_cndmask_b32_e32 v23, 0, v33, vcc_lo
	v_cmp_nlt_f32_e32 vcc_lo, 0x42b17218, v9
	v_cvt_i32_f32_e32 v48, v48
	v_fmac_f32_e32 v41, 0x32a5705f, v21
	v_sub_f32_e32 v38, v38, v43
	v_add_f32_e32 v37, v37, v51
	v_exp_f32_e32 v36, v36
	v_ldexp_f32 v34, v34, v46
	v_cmp_ngt_f32_e64 s0, 0xc2ce8ed0, v13
	v_cndmask_b32_e32 v9, 0x7f800000, v32, vcc_lo
	v_fmac_f32_e32 v8, v3, v10
	v_cmp_nlt_f32_e32 vcc_lo, 0x42b17218, v11
	v_cvt_i32_f32_e32 v50, v50
	v_add_f32_e32 v38, v38, v41
	v_exp_f32_e32 v37, v37
	v_ldexp_f32 v35, v35, v48
	v_cmp_ngt_f32_e64 s1, 0xc2ce8ed0, v15
	v_cndmask_b32_e32 v10, 0x7f800000, v23, vcc_lo
	v_fmac_f32_e32 v8, v9, v12
	v_cmp_nlt_f32_e32 vcc_lo, 0x42b17218, v13
	v_cvt_i32_f32_e32 v39, v39
	v_exp_f32_e32 v38, v38
	v_ldexp_f32 v36, v36, v50
	v_cmp_ngt_f32_e64 s2, 0xc2ce8ed0, v17
	v_fmac_f32_e32 v8, v10, v14
	v_cvt_i32_f32_e32 v43, v43
	v_ldexp_f32 v37, v37, v39
	v_cmp_ngt_f32_e64 s3, 0xc2ce8ed0, v19
	v_cmp_ngt_f32_e64 s4, 0xc2ce8ed0, v21
	v_ldexp_f32 v38, v38, v43
	s_waitcnt vmcnt(7)
	v_fmac_f32_e32 v7, v25, v3
	v_cndmask_b32_e64 v3, 0, v34, s0
	s_waitcnt vmcnt(5)
	v_fmac_f32_e32 v7, v26, v9
	v_cndmask_b32_e64 v9, 0, v35, s1
	v_cndmask_b32_e32 v3, 0x7f800000, v3, vcc_lo
	v_cmp_nlt_f32_e32 vcc_lo, 0x42b17218, v15
	v_fmac_f32_e32 v8, v3, v16
	v_cndmask_b32_e32 v9, 0x7f800000, v9, vcc_lo
	v_cmp_nlt_f32_e32 vcc_lo, 0x42b17218, v17
	s_waitcnt vmcnt(4)
	v_fmac_f32_e32 v7, v27, v10
	v_cndmask_b32_e64 v10, 0, v36, s2
	v_fmac_f32_e32 v8, v9, v18
	s_waitcnt vmcnt(3)
	v_fmac_f32_e32 v7, v28, v3
	v_cndmask_b32_e64 v3, 0, v37, s3
	v_cndmask_b32_e32 v10, 0x7f800000, v10, vcc_lo
	v_cmp_nlt_f32_e32 vcc_lo, 0x42b17218, v19
	v_fmac_f32_e32 v7, v29, v9
	v_cndmask_b32_e64 v9, 0, v38, s4
	v_fmac_f32_e32 v8, v10, v20
	v_cndmask_b32_e32 v3, 0x7f800000, v3, vcc_lo
	v_cmp_nlt_f32_e32 vcc_lo, 0x42b17218, v21
	s_waitcnt vmcnt(2)
	v_fmac_f32_e32 v7, v30, v10
	v_fmac_f32_e32 v8, v3, v22
	v_cndmask_b32_e32 v9, 0x7f800000, v9, vcc_lo
	s_waitcnt vmcnt(1)
	v_fmac_f32_e32 v7, v31, v3
	v_fmac_f32_e32 v8, v9, v24
	s_waitcnt vmcnt(0)
	v_fmac_f32_e32 v7, v2, v9
	s_cbranch_scc0 .LBB13_14
; %bb.15:
	s_and_b32 s1, s9, 7
	s_cmp_eq_u32 s1, 0
	s_cbranch_scc0 .LBB13_18
	s_branch .LBB13_20
.LBB13_16:
	v_mov_b32_e32 v0, 0x7fc00000
	s_branch .LBB13_21
.LBB13_17:
	v_mov_b32_e32 v7, 0
	v_mov_b32_e32 v8, 0
	s_mov_b32 s14, 0
	s_and_b32 s1, s9, 7
	s_cmp_eq_u32 s1, 0
	s_cbranch_scc1 .LBB13_20
.LBB13_18:
	v_mad_u64_u32 v[0:1], null, 0x50, s14, v[0:1]
	v_mov_b32_e32 v1, 0
	s_lshl_b64 s[2:3], s[6:7], 2
	s_add_u32 s0, s12, s2
	s_addc_u32 s2, s13, s3
	v_lshlrev_b64 v[0:1], 2, v[0:1]
	v_add_co_u32 v0, vcc_lo, s0, v0
	v_add_co_ci_u32_e64 v1, null, s2, v1, vcc_lo
	s_lshl_b32 s0, s14, 3
	s_add_i32 s2, s0, 0
	s_inst_prefetch 0x1
	.p2align	6
.LBB13_19:                              ; =>This Inner Loop Header: Depth=1
	global_load_dword v4, v[0:1], off
	v_mov_b32_e32 v2, s2
	s_add_i32 s1, s1, -1
	s_add_i32 s2, s2, 8
	s_cmp_lg_u32 s1, 0
	ds_read_b64 v[2:3], v2
	s_waitcnt lgkmcnt(0)
	v_sub_f32_e32 v2, v2, v6
	v_mul_f32_e32 v9, 0x3fb8aa3b, v2
	v_cmp_ngt_f32_e32 vcc_lo, 0xc2ce8ed0, v2
	v_cmp_nlt_f32_e64 s0, 0x42b17218, v2
	v_fma_f32 v10, 0x3fb8aa3b, v2, -v9
	v_rndne_f32_e32 v11, v9
	v_fmac_f32_e32 v10, 0x32a5705f, v2
	v_sub_f32_e32 v9, v9, v11
	v_add_f32_e32 v9, v9, v10
	v_cvt_i32_f32_e32 v10, v11
	v_exp_f32_e32 v9, v9
	v_ldexp_f32 v9, v9, v10
	v_cndmask_b32_e32 v9, 0, v9, vcc_lo
	v_add_co_u32 v0, vcc_lo, 0x140, v0
	v_add_co_ci_u32_e64 v1, null, 0, v1, vcc_lo
	v_cndmask_b32_e64 v2, 0x7f800000, v9, s0
	v_fmac_f32_e32 v8, v2, v3
	s_waitcnt vmcnt(0)
	v_fmac_f32_e32 v7, v4, v2
	s_cbranch_scc1 .LBB13_19
.LBB13_20:
	s_inst_prefetch 0x2
	v_div_scale_f32 v0, null, v8, v8, v7
	v_rcp_f32_e32 v1, v0
	v_fma_f32 v2, -v0, v1, 1.0
	v_fmac_f32_e32 v1, v2, v1
	v_div_scale_f32 v2, vcc_lo, v7, v8, v7
	v_mul_f32_e32 v3, v2, v1
	v_fma_f32 v4, -v0, v3, v2
	v_fmac_f32_e32 v3, v4, v1
	v_fma_f32 v0, -v0, v3, v2
	v_div_fmas_f32 v0, v0, v1, v3
	v_div_fixup_f32 v0, v0, v8, v7
.LBB13_21:
	s_mul_i32 s0, s8, 0x50
	s_ashr_i32 s1, s0, 31
	s_lshl_b64 s[0:1], s[0:1], 2
	s_add_u32 s0, s10, s0
	s_addc_u32 s1, s11, s1
	global_store_dword v5, v0, s[0:1]
	s_endpgm
	.section	.rodata,"a",@progbits
	.p2align	6, 0x0
	.amdhsa_kernel _ZL26flash_attn_combine_resultsILi80EEvPKfPK15HIP_vector_typeIfLj2EEPfi
		.amdhsa_group_segment_fixed_size 0
		.amdhsa_private_segment_fixed_size 0
		.amdhsa_kernarg_size 288
		.amdhsa_user_sgpr_count 6
		.amdhsa_user_sgpr_private_segment_buffer 1
		.amdhsa_user_sgpr_dispatch_ptr 0
		.amdhsa_user_sgpr_queue_ptr 0
		.amdhsa_user_sgpr_kernarg_segment_ptr 1
		.amdhsa_user_sgpr_dispatch_id 0
		.amdhsa_user_sgpr_flat_scratch_init 0
		.amdhsa_user_sgpr_private_segment_size 0
		.amdhsa_wavefront_size32 1
		.amdhsa_uses_dynamic_stack 0
		.amdhsa_system_sgpr_private_segment_wavefront_offset 0
		.amdhsa_system_sgpr_workgroup_id_x 1
		.amdhsa_system_sgpr_workgroup_id_y 1
		.amdhsa_system_sgpr_workgroup_id_z 1
		.amdhsa_system_sgpr_workgroup_info 0
		.amdhsa_system_vgpr_workitem_id 0
		.amdhsa_next_free_vgpr 52
		.amdhsa_next_free_sgpr 19
		.amdhsa_reserve_vcc 1
		.amdhsa_reserve_flat_scratch 0
		.amdhsa_float_round_mode_32 0
		.amdhsa_float_round_mode_16_64 0
		.amdhsa_float_denorm_mode_32 3
		.amdhsa_float_denorm_mode_16_64 3
		.amdhsa_dx10_clamp 1
		.amdhsa_ieee_mode 1
		.amdhsa_fp16_overflow 0
		.amdhsa_workgroup_processor_mode 1
		.amdhsa_memory_ordered 1
		.amdhsa_forward_progress 1
		.amdhsa_shared_vgpr_count 0
		.amdhsa_exception_fp_ieee_invalid_op 0
		.amdhsa_exception_fp_denorm_src 0
		.amdhsa_exception_fp_ieee_div_zero 0
		.amdhsa_exception_fp_ieee_overflow 0
		.amdhsa_exception_fp_ieee_underflow 0
		.amdhsa_exception_fp_ieee_inexact 0
		.amdhsa_exception_int_div_zero 0
	.end_amdhsa_kernel
	.section	.text._ZL26flash_attn_combine_resultsILi80EEvPKfPK15HIP_vector_typeIfLj2EEPfi,"axG",@progbits,_ZL26flash_attn_combine_resultsILi80EEvPKfPK15HIP_vector_typeIfLj2EEPfi,comdat
.Lfunc_end13:
	.size	_ZL26flash_attn_combine_resultsILi80EEvPKfPK15HIP_vector_typeIfLj2EEPfi, .Lfunc_end13-_ZL26flash_attn_combine_resultsILi80EEvPKfPK15HIP_vector_typeIfLj2EEPfi
                                        ; -- End function
	.set _ZL26flash_attn_combine_resultsILi80EEvPKfPK15HIP_vector_typeIfLj2EEPfi.num_vgpr, 52
	.set _ZL26flash_attn_combine_resultsILi80EEvPKfPK15HIP_vector_typeIfLj2EEPfi.num_agpr, 0
	.set _ZL26flash_attn_combine_resultsILi80EEvPKfPK15HIP_vector_typeIfLj2EEPfi.numbered_sgpr, 19
	.set _ZL26flash_attn_combine_resultsILi80EEvPKfPK15HIP_vector_typeIfLj2EEPfi.num_named_barrier, 0
	.set _ZL26flash_attn_combine_resultsILi80EEvPKfPK15HIP_vector_typeIfLj2EEPfi.private_seg_size, 0
	.set _ZL26flash_attn_combine_resultsILi80EEvPKfPK15HIP_vector_typeIfLj2EEPfi.uses_vcc, 1
	.set _ZL26flash_attn_combine_resultsILi80EEvPKfPK15HIP_vector_typeIfLj2EEPfi.uses_flat_scratch, 0
	.set _ZL26flash_attn_combine_resultsILi80EEvPKfPK15HIP_vector_typeIfLj2EEPfi.has_dyn_sized_stack, 0
	.set _ZL26flash_attn_combine_resultsILi80EEvPKfPK15HIP_vector_typeIfLj2EEPfi.has_recursion, 0
	.set _ZL26flash_attn_combine_resultsILi80EEvPKfPK15HIP_vector_typeIfLj2EEPfi.has_indirect_call, 0
	.section	.AMDGPU.csdata,"",@progbits
; Kernel info:
; codeLenInByte = 2264
; TotalNumSgprs: 21
; NumVgprs: 52
; ScratchSize: 0
; MemoryBound: 0
; FloatMode: 240
; IeeeMode: 1
; LDSByteSize: 0 bytes/workgroup (compile time only)
; SGPRBlocks: 0
; VGPRBlocks: 6
; NumSGPRsForWavesPerEU: 21
; NumVGPRsForWavesPerEU: 52
; Occupancy: 16
; WaveLimiterHint : 0
; COMPUTE_PGM_RSRC2:SCRATCH_EN: 0
; COMPUTE_PGM_RSRC2:USER_SGPR: 6
; COMPUTE_PGM_RSRC2:TRAP_HANDLER: 0
; COMPUTE_PGM_RSRC2:TGID_X_EN: 1
; COMPUTE_PGM_RSRC2:TGID_Y_EN: 1
; COMPUTE_PGM_RSRC2:TGID_Z_EN: 1
; COMPUTE_PGM_RSRC2:TIDIG_COMP_CNT: 0
	.section	.text._ZL18flash_attn_ext_f16ILi96ELi96ELi8ELi1ELb0ELb0EEvPKcS1_S1_S1_S1_PKiPfP15HIP_vector_typeIfLj2EEffffjfiS5_IjLj3EEiiiiiiiiiiiliiliiiiil,"axG",@progbits,_ZL18flash_attn_ext_f16ILi96ELi96ELi8ELi1ELb0ELb0EEvPKcS1_S1_S1_S1_PKiPfP15HIP_vector_typeIfLj2EEffffjfiS5_IjLj3EEiiiiiiiiiiiliiliiiiil,comdat
	.globl	_ZL18flash_attn_ext_f16ILi96ELi96ELi8ELi1ELb0ELb0EEvPKcS1_S1_S1_S1_PKiPfP15HIP_vector_typeIfLj2EEffffjfiS5_IjLj3EEiiiiiiiiiiiliiliiiiil ; -- Begin function _ZL18flash_attn_ext_f16ILi96ELi96ELi8ELi1ELb0ELb0EEvPKcS1_S1_S1_S1_PKiPfP15HIP_vector_typeIfLj2EEffffjfiS5_IjLj3EEiiiiiiiiiiiliiliiiiil
	.p2align	8
	.type	_ZL18flash_attn_ext_f16ILi96ELi96ELi8ELi1ELb0ELb0EEvPKcS1_S1_S1_S1_PKiPfP15HIP_vector_typeIfLj2EEffffjfiS5_IjLj3EEiiiiiiiiiiiliiliiiiil,@function
_ZL18flash_attn_ext_f16ILi96ELi96ELi8ELi1ELb0ELb0EEvPKcS1_S1_S1_S1_PKiPfP15HIP_vector_typeIfLj2EEffffjfiS5_IjLj3EEiiiiiiiiiiiliiliiiiil: ; @_ZL18flash_attn_ext_f16ILi96ELi96ELi8ELi1ELb0ELb0EEvPKcS1_S1_S1_S1_PKiPfP15HIP_vector_typeIfLj2EEffffjfiS5_IjLj3EEiiiiiiiiiiiliiliiiiil
; %bb.0:
	s_add_u32 s0, s0, s7
	s_addc_u32 s1, s1, 0
	s_add_u32 s8, s4, 0xd0
	s_addc_u32 s9, s5, 0
	s_getpc_b64 s[4:5]
	s_add_u32 s4, s4, _ZL14no_device_codePKciS0_iS0_@rel32@lo+4
	s_addc_u32 s5, s5, _ZL14no_device_codePKciS0_iS0_@rel32@hi+12
	s_mov_b32 s32, 0
	s_swappc_b64 s[30:31], s[4:5]
	.section	.rodata,"a",@progbits
	.p2align	6, 0x0
	.amdhsa_kernel _ZL18flash_attn_ext_f16ILi96ELi96ELi8ELi1ELb0ELb0EEvPKcS1_S1_S1_S1_PKiPfP15HIP_vector_typeIfLj2EEffffjfiS5_IjLj3EEiiiiiiiiiiiliiliiiiil
		.amdhsa_group_segment_fixed_size 0
		.amdhsa_private_segment_fixed_size 16
		.amdhsa_kernarg_size 464
		.amdhsa_user_sgpr_count 6
		.amdhsa_user_sgpr_private_segment_buffer 1
		.amdhsa_user_sgpr_dispatch_ptr 0
		.amdhsa_user_sgpr_queue_ptr 0
		.amdhsa_user_sgpr_kernarg_segment_ptr 1
		.amdhsa_user_sgpr_dispatch_id 0
		.amdhsa_user_sgpr_flat_scratch_init 0
		.amdhsa_user_sgpr_private_segment_size 0
		.amdhsa_wavefront_size32 1
		.amdhsa_uses_dynamic_stack 0
		.amdhsa_system_sgpr_private_segment_wavefront_offset 1
		.amdhsa_system_sgpr_workgroup_id_x 1
		.amdhsa_system_sgpr_workgroup_id_y 0
		.amdhsa_system_sgpr_workgroup_id_z 0
		.amdhsa_system_sgpr_workgroup_info 0
		.amdhsa_system_vgpr_workitem_id 0
		.amdhsa_next_free_vgpr 40
		.amdhsa_next_free_sgpr 34
		.amdhsa_reserve_vcc 1
		.amdhsa_reserve_flat_scratch 0
		.amdhsa_float_round_mode_32 0
		.amdhsa_float_round_mode_16_64 0
		.amdhsa_float_denorm_mode_32 3
		.amdhsa_float_denorm_mode_16_64 3
		.amdhsa_dx10_clamp 1
		.amdhsa_ieee_mode 1
		.amdhsa_fp16_overflow 0
		.amdhsa_workgroup_processor_mode 1
		.amdhsa_memory_ordered 1
		.amdhsa_forward_progress 1
		.amdhsa_shared_vgpr_count 0
		.amdhsa_exception_fp_ieee_invalid_op 0
		.amdhsa_exception_fp_denorm_src 0
		.amdhsa_exception_fp_ieee_div_zero 0
		.amdhsa_exception_fp_ieee_overflow 0
		.amdhsa_exception_fp_ieee_underflow 0
		.amdhsa_exception_fp_ieee_inexact 0
		.amdhsa_exception_int_div_zero 0
	.end_amdhsa_kernel
	.section	.text._ZL18flash_attn_ext_f16ILi96ELi96ELi8ELi1ELb0ELb0EEvPKcS1_S1_S1_S1_PKiPfP15HIP_vector_typeIfLj2EEffffjfiS5_IjLj3EEiiiiiiiiiiiliiliiiiil,"axG",@progbits,_ZL18flash_attn_ext_f16ILi96ELi96ELi8ELi1ELb0ELb0EEvPKcS1_S1_S1_S1_PKiPfP15HIP_vector_typeIfLj2EEffffjfiS5_IjLj3EEiiiiiiiiiiiliiliiiiil,comdat
.Lfunc_end14:
	.size	_ZL18flash_attn_ext_f16ILi96ELi96ELi8ELi1ELb0ELb0EEvPKcS1_S1_S1_S1_PKiPfP15HIP_vector_typeIfLj2EEffffjfiS5_IjLj3EEiiiiiiiiiiiliiliiiiil, .Lfunc_end14-_ZL18flash_attn_ext_f16ILi96ELi96ELi8ELi1ELb0ELb0EEvPKcS1_S1_S1_S1_PKiPfP15HIP_vector_typeIfLj2EEffffjfiS5_IjLj3EEiiiiiiiiiiiliiliiiiil
                                        ; -- End function
	.set _ZL18flash_attn_ext_f16ILi96ELi96ELi8ELi1ELb0ELb0EEvPKcS1_S1_S1_S1_PKiPfP15HIP_vector_typeIfLj2EEffffjfiS5_IjLj3EEiiiiiiiiiiiliiliiiiil.num_vgpr, max(0, .L_ZL14no_device_codePKciS0_iS0_.num_vgpr)
	.set _ZL18flash_attn_ext_f16ILi96ELi96ELi8ELi1ELb0ELb0EEvPKcS1_S1_S1_S1_PKiPfP15HIP_vector_typeIfLj2EEffffjfiS5_IjLj3EEiiiiiiiiiiiliiliiiiil.num_agpr, max(0, .L_ZL14no_device_codePKciS0_iS0_.num_agpr)
	.set _ZL18flash_attn_ext_f16ILi96ELi96ELi8ELi1ELb0ELb0EEvPKcS1_S1_S1_S1_PKiPfP15HIP_vector_typeIfLj2EEffffjfiS5_IjLj3EEiiiiiiiiiiiliiliiiiil.numbered_sgpr, max(33, .L_ZL14no_device_codePKciS0_iS0_.numbered_sgpr)
	.set _ZL18flash_attn_ext_f16ILi96ELi96ELi8ELi1ELb0ELb0EEvPKcS1_S1_S1_S1_PKiPfP15HIP_vector_typeIfLj2EEffffjfiS5_IjLj3EEiiiiiiiiiiiliiliiiiil.num_named_barrier, max(0, .L_ZL14no_device_codePKciS0_iS0_.num_named_barrier)
	.set _ZL18flash_attn_ext_f16ILi96ELi96ELi8ELi1ELb0ELb0EEvPKcS1_S1_S1_S1_PKiPfP15HIP_vector_typeIfLj2EEffffjfiS5_IjLj3EEiiiiiiiiiiiliiliiiiil.private_seg_size, 0+max(.L_ZL14no_device_codePKciS0_iS0_.private_seg_size)
	.set _ZL18flash_attn_ext_f16ILi96ELi96ELi8ELi1ELb0ELb0EEvPKcS1_S1_S1_S1_PKiPfP15HIP_vector_typeIfLj2EEffffjfiS5_IjLj3EEiiiiiiiiiiiliiliiiiil.uses_vcc, or(1, .L_ZL14no_device_codePKciS0_iS0_.uses_vcc)
	.set _ZL18flash_attn_ext_f16ILi96ELi96ELi8ELi1ELb0ELb0EEvPKcS1_S1_S1_S1_PKiPfP15HIP_vector_typeIfLj2EEffffjfiS5_IjLj3EEiiiiiiiiiiiliiliiiiil.uses_flat_scratch, or(0, .L_ZL14no_device_codePKciS0_iS0_.uses_flat_scratch)
	.set _ZL18flash_attn_ext_f16ILi96ELi96ELi8ELi1ELb0ELb0EEvPKcS1_S1_S1_S1_PKiPfP15HIP_vector_typeIfLj2EEffffjfiS5_IjLj3EEiiiiiiiiiiiliiliiiiil.has_dyn_sized_stack, or(0, .L_ZL14no_device_codePKciS0_iS0_.has_dyn_sized_stack)
	.set _ZL18flash_attn_ext_f16ILi96ELi96ELi8ELi1ELb0ELb0EEvPKcS1_S1_S1_S1_PKiPfP15HIP_vector_typeIfLj2EEffffjfiS5_IjLj3EEiiiiiiiiiiiliiliiiiil.has_recursion, or(0, .L_ZL14no_device_codePKciS0_iS0_.has_recursion)
	.set _ZL18flash_attn_ext_f16ILi96ELi96ELi8ELi1ELb0ELb0EEvPKcS1_S1_S1_S1_PKiPfP15HIP_vector_typeIfLj2EEffffjfiS5_IjLj3EEiiiiiiiiiiiliiliiiiil.has_indirect_call, or(0, .L_ZL14no_device_codePKciS0_iS0_.has_indirect_call)
	.section	.AMDGPU.csdata,"",@progbits
; Kernel info:
; codeLenInByte = 48
; TotalNumSgprs: 36
; NumVgprs: 40
; ScratchSize: 16
; MemoryBound: 0
; FloatMode: 240
; IeeeMode: 1
; LDSByteSize: 0 bytes/workgroup (compile time only)
; SGPRBlocks: 0
; VGPRBlocks: 4
; NumSGPRsForWavesPerEU: 36
; NumVGPRsForWavesPerEU: 40
; Occupancy: 16
; WaveLimiterHint : 1
; COMPUTE_PGM_RSRC2:SCRATCH_EN: 1
; COMPUTE_PGM_RSRC2:USER_SGPR: 6
; COMPUTE_PGM_RSRC2:TRAP_HANDLER: 0
; COMPUTE_PGM_RSRC2:TGID_X_EN: 1
; COMPUTE_PGM_RSRC2:TGID_Y_EN: 0
; COMPUTE_PGM_RSRC2:TGID_Z_EN: 0
; COMPUTE_PGM_RSRC2:TIDIG_COMP_CNT: 0
	.section	.text._ZL18flash_attn_ext_f16ILi96ELi96ELi8ELi1ELb1ELb0EEvPKcS1_S1_S1_S1_PKiPfP15HIP_vector_typeIfLj2EEffffjfiS5_IjLj3EEiiiiiiiiiiiliiliiiiil,"axG",@progbits,_ZL18flash_attn_ext_f16ILi96ELi96ELi8ELi1ELb1ELb0EEvPKcS1_S1_S1_S1_PKiPfP15HIP_vector_typeIfLj2EEffffjfiS5_IjLj3EEiiiiiiiiiiiliiliiiiil,comdat
	.globl	_ZL18flash_attn_ext_f16ILi96ELi96ELi8ELi1ELb1ELb0EEvPKcS1_S1_S1_S1_PKiPfP15HIP_vector_typeIfLj2EEffffjfiS5_IjLj3EEiiiiiiiiiiiliiliiiiil ; -- Begin function _ZL18flash_attn_ext_f16ILi96ELi96ELi8ELi1ELb1ELb0EEvPKcS1_S1_S1_S1_PKiPfP15HIP_vector_typeIfLj2EEffffjfiS5_IjLj3EEiiiiiiiiiiiliiliiiiil
	.p2align	8
	.type	_ZL18flash_attn_ext_f16ILi96ELi96ELi8ELi1ELb1ELb0EEvPKcS1_S1_S1_S1_PKiPfP15HIP_vector_typeIfLj2EEffffjfiS5_IjLj3EEiiiiiiiiiiiliiliiiiil,@function
_ZL18flash_attn_ext_f16ILi96ELi96ELi8ELi1ELb1ELb0EEvPKcS1_S1_S1_S1_PKiPfP15HIP_vector_typeIfLj2EEffffjfiS5_IjLj3EEiiiiiiiiiiiliiliiiiil: ; @_ZL18flash_attn_ext_f16ILi96ELi96ELi8ELi1ELb1ELb0EEvPKcS1_S1_S1_S1_PKiPfP15HIP_vector_typeIfLj2EEffffjfiS5_IjLj3EEiiiiiiiiiiiliiliiiiil
; %bb.0:
	s_add_u32 s0, s0, s7
	s_addc_u32 s1, s1, 0
	s_add_u32 s8, s4, 0xd0
	s_addc_u32 s9, s5, 0
	s_getpc_b64 s[4:5]
	s_add_u32 s4, s4, _ZL14no_device_codePKciS0_iS0_@rel32@lo+4
	s_addc_u32 s5, s5, _ZL14no_device_codePKciS0_iS0_@rel32@hi+12
	s_mov_b32 s32, 0
	s_swappc_b64 s[30:31], s[4:5]
	.section	.rodata,"a",@progbits
	.p2align	6, 0x0
	.amdhsa_kernel _ZL18flash_attn_ext_f16ILi96ELi96ELi8ELi1ELb1ELb0EEvPKcS1_S1_S1_S1_PKiPfP15HIP_vector_typeIfLj2EEffffjfiS5_IjLj3EEiiiiiiiiiiiliiliiiiil
		.amdhsa_group_segment_fixed_size 0
		.amdhsa_private_segment_fixed_size 16
		.amdhsa_kernarg_size 464
		.amdhsa_user_sgpr_count 6
		.amdhsa_user_sgpr_private_segment_buffer 1
		.amdhsa_user_sgpr_dispatch_ptr 0
		.amdhsa_user_sgpr_queue_ptr 0
		.amdhsa_user_sgpr_kernarg_segment_ptr 1
		.amdhsa_user_sgpr_dispatch_id 0
		.amdhsa_user_sgpr_flat_scratch_init 0
		.amdhsa_user_sgpr_private_segment_size 0
		.amdhsa_wavefront_size32 1
		.amdhsa_uses_dynamic_stack 0
		.amdhsa_system_sgpr_private_segment_wavefront_offset 1
		.amdhsa_system_sgpr_workgroup_id_x 1
		.amdhsa_system_sgpr_workgroup_id_y 0
		.amdhsa_system_sgpr_workgroup_id_z 0
		.amdhsa_system_sgpr_workgroup_info 0
		.amdhsa_system_vgpr_workitem_id 0
		.amdhsa_next_free_vgpr 40
		.amdhsa_next_free_sgpr 34
		.amdhsa_reserve_vcc 1
		.amdhsa_reserve_flat_scratch 0
		.amdhsa_float_round_mode_32 0
		.amdhsa_float_round_mode_16_64 0
		.amdhsa_float_denorm_mode_32 3
		.amdhsa_float_denorm_mode_16_64 3
		.amdhsa_dx10_clamp 1
		.amdhsa_ieee_mode 1
		.amdhsa_fp16_overflow 0
		.amdhsa_workgroup_processor_mode 1
		.amdhsa_memory_ordered 1
		.amdhsa_forward_progress 1
		.amdhsa_shared_vgpr_count 0
		.amdhsa_exception_fp_ieee_invalid_op 0
		.amdhsa_exception_fp_denorm_src 0
		.amdhsa_exception_fp_ieee_div_zero 0
		.amdhsa_exception_fp_ieee_overflow 0
		.amdhsa_exception_fp_ieee_underflow 0
		.amdhsa_exception_fp_ieee_inexact 0
		.amdhsa_exception_int_div_zero 0
	.end_amdhsa_kernel
	.section	.text._ZL18flash_attn_ext_f16ILi96ELi96ELi8ELi1ELb1ELb0EEvPKcS1_S1_S1_S1_PKiPfP15HIP_vector_typeIfLj2EEffffjfiS5_IjLj3EEiiiiiiiiiiiliiliiiiil,"axG",@progbits,_ZL18flash_attn_ext_f16ILi96ELi96ELi8ELi1ELb1ELb0EEvPKcS1_S1_S1_S1_PKiPfP15HIP_vector_typeIfLj2EEffffjfiS5_IjLj3EEiiiiiiiiiiiliiliiiiil,comdat
.Lfunc_end15:
	.size	_ZL18flash_attn_ext_f16ILi96ELi96ELi8ELi1ELb1ELb0EEvPKcS1_S1_S1_S1_PKiPfP15HIP_vector_typeIfLj2EEffffjfiS5_IjLj3EEiiiiiiiiiiiliiliiiiil, .Lfunc_end15-_ZL18flash_attn_ext_f16ILi96ELi96ELi8ELi1ELb1ELb0EEvPKcS1_S1_S1_S1_PKiPfP15HIP_vector_typeIfLj2EEffffjfiS5_IjLj3EEiiiiiiiiiiiliiliiiiil
                                        ; -- End function
	.set _ZL18flash_attn_ext_f16ILi96ELi96ELi8ELi1ELb1ELb0EEvPKcS1_S1_S1_S1_PKiPfP15HIP_vector_typeIfLj2EEffffjfiS5_IjLj3EEiiiiiiiiiiiliiliiiiil.num_vgpr, max(0, .L_ZL14no_device_codePKciS0_iS0_.num_vgpr)
	.set _ZL18flash_attn_ext_f16ILi96ELi96ELi8ELi1ELb1ELb0EEvPKcS1_S1_S1_S1_PKiPfP15HIP_vector_typeIfLj2EEffffjfiS5_IjLj3EEiiiiiiiiiiiliiliiiiil.num_agpr, max(0, .L_ZL14no_device_codePKciS0_iS0_.num_agpr)
	.set _ZL18flash_attn_ext_f16ILi96ELi96ELi8ELi1ELb1ELb0EEvPKcS1_S1_S1_S1_PKiPfP15HIP_vector_typeIfLj2EEffffjfiS5_IjLj3EEiiiiiiiiiiiliiliiiiil.numbered_sgpr, max(33, .L_ZL14no_device_codePKciS0_iS0_.numbered_sgpr)
	.set _ZL18flash_attn_ext_f16ILi96ELi96ELi8ELi1ELb1ELb0EEvPKcS1_S1_S1_S1_PKiPfP15HIP_vector_typeIfLj2EEffffjfiS5_IjLj3EEiiiiiiiiiiiliiliiiiil.num_named_barrier, max(0, .L_ZL14no_device_codePKciS0_iS0_.num_named_barrier)
	.set _ZL18flash_attn_ext_f16ILi96ELi96ELi8ELi1ELb1ELb0EEvPKcS1_S1_S1_S1_PKiPfP15HIP_vector_typeIfLj2EEffffjfiS5_IjLj3EEiiiiiiiiiiiliiliiiiil.private_seg_size, 0+max(.L_ZL14no_device_codePKciS0_iS0_.private_seg_size)
	.set _ZL18flash_attn_ext_f16ILi96ELi96ELi8ELi1ELb1ELb0EEvPKcS1_S1_S1_S1_PKiPfP15HIP_vector_typeIfLj2EEffffjfiS5_IjLj3EEiiiiiiiiiiiliiliiiiil.uses_vcc, or(1, .L_ZL14no_device_codePKciS0_iS0_.uses_vcc)
	.set _ZL18flash_attn_ext_f16ILi96ELi96ELi8ELi1ELb1ELb0EEvPKcS1_S1_S1_S1_PKiPfP15HIP_vector_typeIfLj2EEffffjfiS5_IjLj3EEiiiiiiiiiiiliiliiiiil.uses_flat_scratch, or(0, .L_ZL14no_device_codePKciS0_iS0_.uses_flat_scratch)
	.set _ZL18flash_attn_ext_f16ILi96ELi96ELi8ELi1ELb1ELb0EEvPKcS1_S1_S1_S1_PKiPfP15HIP_vector_typeIfLj2EEffffjfiS5_IjLj3EEiiiiiiiiiiiliiliiiiil.has_dyn_sized_stack, or(0, .L_ZL14no_device_codePKciS0_iS0_.has_dyn_sized_stack)
	.set _ZL18flash_attn_ext_f16ILi96ELi96ELi8ELi1ELb1ELb0EEvPKcS1_S1_S1_S1_PKiPfP15HIP_vector_typeIfLj2EEffffjfiS5_IjLj3EEiiiiiiiiiiiliiliiiiil.has_recursion, or(0, .L_ZL14no_device_codePKciS0_iS0_.has_recursion)
	.set _ZL18flash_attn_ext_f16ILi96ELi96ELi8ELi1ELb1ELb0EEvPKcS1_S1_S1_S1_PKiPfP15HIP_vector_typeIfLj2EEffffjfiS5_IjLj3EEiiiiiiiiiiiliiliiiiil.has_indirect_call, or(0, .L_ZL14no_device_codePKciS0_iS0_.has_indirect_call)
	.section	.AMDGPU.csdata,"",@progbits
; Kernel info:
; codeLenInByte = 48
; TotalNumSgprs: 36
; NumVgprs: 40
; ScratchSize: 16
; MemoryBound: 0
; FloatMode: 240
; IeeeMode: 1
; LDSByteSize: 0 bytes/workgroup (compile time only)
; SGPRBlocks: 0
; VGPRBlocks: 4
; NumSGPRsForWavesPerEU: 36
; NumVGPRsForWavesPerEU: 40
; Occupancy: 16
; WaveLimiterHint : 1
; COMPUTE_PGM_RSRC2:SCRATCH_EN: 1
; COMPUTE_PGM_RSRC2:USER_SGPR: 6
; COMPUTE_PGM_RSRC2:TRAP_HANDLER: 0
; COMPUTE_PGM_RSRC2:TGID_X_EN: 1
; COMPUTE_PGM_RSRC2:TGID_Y_EN: 0
; COMPUTE_PGM_RSRC2:TGID_Z_EN: 0
; COMPUTE_PGM_RSRC2:TIDIG_COMP_CNT: 0
	.section	.text._ZL33flash_attn_stream_k_fixup_uniformILi96ELi8ELi1EEvPfPK15HIP_vector_typeIfLj2EEiiiiiiS1_IjLj3EES5_S5_,"axG",@progbits,_ZL33flash_attn_stream_k_fixup_uniformILi96ELi8ELi1EEvPfPK15HIP_vector_typeIfLj2EEiiiiiiS1_IjLj3EES5_S5_,comdat
	.globl	_ZL33flash_attn_stream_k_fixup_uniformILi96ELi8ELi1EEvPfPK15HIP_vector_typeIfLj2EEiiiiiiS1_IjLj3EES5_S5_ ; -- Begin function _ZL33flash_attn_stream_k_fixup_uniformILi96ELi8ELi1EEvPfPK15HIP_vector_typeIfLj2EEiiiiiiS1_IjLj3EES5_S5_
	.p2align	8
	.type	_ZL33flash_attn_stream_k_fixup_uniformILi96ELi8ELi1EEvPfPK15HIP_vector_typeIfLj2EEiiiiiiS1_IjLj3EES5_S5_,@function
_ZL33flash_attn_stream_k_fixup_uniformILi96ELi8ELi1EEvPfPK15HIP_vector_typeIfLj2EEiiiiiiS1_IjLj3EES5_S5_: ; @_ZL33flash_attn_stream_k_fixup_uniformILi96ELi8ELi1EEvPfPK15HIP_vector_typeIfLj2EEiiiiiiS1_IjLj3EES5_S5_
; %bb.0:
	s_clause 0x2
	s_load_dwordx8 s[12:19], s[4:5], 0x1c
	s_load_dwordx4 s[20:23], s[4:5], 0x3c
	s_load_dwordx2 s[10:11], s[4:5], 0x10
	s_waitcnt lgkmcnt(0)
	s_mul_hi_u32 s0, s15, s6
	s_add_i32 s0, s6, s0
	s_lshr_b32 s0, s0, s16
	s_mul_i32 s1, s0, s17
	s_sub_i32 s1, s6, s1
	s_mul_hi_u32 s2, s1, s18
	s_add_i32 s2, s1, s2
	s_lshr_b32 s9, s2, s19
	s_mul_i32 s2, s9, s20
	s_sub_i32 s1, s1, s2
	;; [unrolled: 5-line block ×3, first 2 shown]
	s_lshl_b32 s1, s15, 3
	s_add_i32 s1, s1, s7
	s_cmp_lt_i32 s1, s10
	s_cselect_b32 s1, -1, 0
	s_add_i32 s16, s16, s8
	s_cmp_lt_i32 s16, s13
	s_cselect_b32 s2, -1, 0
	s_and_b32 s1, s1, s2
	s_andn2_b32 vcc_lo, exec_lo, s1
	s_cbranch_vccnz .LBB16_6
; %bb.1:
	s_mul_i32 s10, s0, s10
	s_load_dwordx4 s[0:3], s[4:5], 0x0
	s_add_i32 s4, s10, s7
	s_mul_i32 s9, s9, s13
	s_mul_i32 s4, s4, s11
	s_add_i32 s5, s16, s9
	s_mul_i32 s9, s11, s15
	s_add_i32 s4, s5, s4
	s_mulk_i32 s9, 0x300
	s_mulk_i32 s4, 0x60
	s_add_i32 s8, s7, s8
	v_add3_u32 v1, s4, s9, v0
	s_mul_i32 s4, s14, s6
	s_add_i32 s9, s4, s14
	v_ashrrev_i32_e32 v2, 31, v1
	v_lshlrev_b64 v[1:2], 2, v[1:2]
	s_waitcnt lgkmcnt(0)
	v_add_co_u32 v1, vcc_lo, s0, v1
	v_add_co_ci_u32_e64 v2, null, s1, v2, vcc_lo
	s_lshl_b32 s0, s9, 3
	s_add_i32 s0, s8, s0
	global_load_dword v5, v[1:2], off
	s_add_i32 s0, s0, -8
	s_ashr_i32 s1, s0, 31
	s_lshl_b64 s[0:1], s[0:1], 3
	s_add_u32 s0, s2, s0
	s_addc_u32 s1, s3, s1
	s_add_i32 s5, s9, -2
	s_load_dword s10, s[0:1], 0x4
	s_cmp_lt_i32 s5, s4
	s_cbranch_scc1 .LBB16_4
; %bb.2:
	s_load_dword s11, s[0:1], 0x0
	s_lshl_b32 s0, s12, 5
	s_waitcnt lgkmcnt(0)
	v_mov_b32_e32 v6, s10
	s_ashr_i32 s1, s0, 31
	s_lshl_b64 s[0:1], s[0:1], 2
	s_add_u32 s5, s2, s0
	s_addc_u32 s7, s3, s1
	s_add_i32 s6, s6, 1
	s_mul_i32 s1, s8, 0x60
	s_mul_i32 s0, s14, s6
	s_lshl_b32 s6, s0, 3
	s_mulk_i32 s0, 0x300
	s_add_i32 s6, s8, s6
	s_add_i32 s1, s1, s0
	s_lshl_b32 s0, s12, 3
	v_add3_u32 v3, s1, v0, 0xfffffa00
	s_add_i32 s0, s6, s0
	v_mov_b32_e32 v0, s11
	s_add_i32 s6, s9, -1
	s_add_i32 s0, s0, -16
.LBB16_3:                               ; =>This Inner Loop Header: Depth=1
	v_ashrrev_i32_e32 v4, 31, v3
	s_ashr_i32 s1, s0, 31
	s_lshl_b64 s[8:9], s[0:1], 3
	s_add_u32 s8, s2, s8
	v_lshlrev_b64 v[7:8], 2, v[3:4]
	s_addc_u32 s9, s3, s9
	v_add_nc_u32_e32 v3, 0xfffffd00, v3
	s_add_i32 s6, s6, -1
	s_add_i32 s0, s0, -8
	s_cmp_le_i32 s6, s4
	v_add_co_u32 v7, vcc_lo, s5, v7
	v_add_co_ci_u32_e64 v8, null, s7, v8, vcc_lo
	s_load_dwordx2 s[8:9], s[8:9], 0x0
	global_load_dword v4, v[7:8], off
	v_max_f32_e32 v7, v0, v0
	s_waitcnt lgkmcnt(0)
	v_max_f32_e64 v8, s8, s8
	v_max_f32_e32 v7, v7, v8
	v_sub_f32_e32 v8, s8, v7
	v_sub_f32_e32 v0, v0, v7
	v_mul_f32_e32 v9, 0x3fb8aa3b, v8
	v_mul_f32_e32 v12, 0x3fb8aa3b, v0
	v_cmp_ngt_f32_e32 vcc_lo, 0xc2ce8ed0, v8
	v_fma_f32 v10, 0x3fb8aa3b, v8, -v9
	v_rndne_f32_e32 v11, v9
	v_fma_f32 v13, 0x3fb8aa3b, v0, -v12
	v_rndne_f32_e32 v14, v12
	v_fmac_f32_e32 v10, 0x32a5705f, v8
	v_sub_f32_e32 v9, v9, v11
	v_fmac_f32_e32 v13, 0x32a5705f, v0
	v_cvt_i32_f32_e32 v11, v11
	v_add_f32_e32 v9, v9, v10
	v_sub_f32_e32 v10, v12, v14
	v_exp_f32_e32 v9, v9
	v_add_f32_e32 v10, v10, v13
	v_exp_f32_e32 v10, v10
	v_ldexp_f32 v9, v9, v11
	v_cvt_i32_f32_e32 v11, v14
	v_cndmask_b32_e32 v9, 0, v9, vcc_lo
	v_cmp_nlt_f32_e32 vcc_lo, 0x42b17218, v8
	v_ldexp_f32 v10, v10, v11
	v_mov_b32_e32 v11, v6
	v_cndmask_b32_e32 v9, 0x7f800000, v9, vcc_lo
	v_cmp_ngt_f32_e32 vcc_lo, 0xc2ce8ed0, v0
	v_cndmask_b32_e32 v10, 0, v10, vcc_lo
	v_cmp_le_f32_e32 vcc_lo, 0xc1a00000, v8
	v_cndmask_b32_e32 v8, 0, v9, vcc_lo
	v_cmp_nlt_f32_e32 vcc_lo, 0x42b17218, v0
	s_waitcnt vmcnt(1)
	v_mov_b32_e32 v9, v5
	v_cndmask_b32_e32 v5, 0x7f800000, v10, vcc_lo
	v_mul_f32_e32 v10, s9, v8
	v_cmp_le_f32_e32 vcc_lo, 0xc1a00000, v0
	v_mov_b32_e32 v0, v7
	v_mov_b32_e32 v6, v10
	v_cndmask_b32_e32 v12, 0, v5, vcc_lo
	v_fmac_f32_e32 v6, v11, v12
	s_waitcnt vmcnt(0)
	v_mul_f32_e32 v5, v4, v8
	v_fmac_f32_e32 v5, v9, v12
	s_cbranch_scc0 .LBB16_3
	s_branch .LBB16_5
.LBB16_4:
	s_waitcnt lgkmcnt(0)
	v_mov_b32_e32 v6, s10
.LBB16_5:
	s_waitcnt vmcnt(0)
	v_div_scale_f32 v0, null, v6, v6, v5
	v_rcp_f32_e32 v3, v0
	v_fma_f32 v4, -v0, v3, 1.0
	v_fmac_f32_e32 v3, v4, v3
	v_div_scale_f32 v4, vcc_lo, v5, v6, v5
	v_mul_f32_e32 v7, v4, v3
	v_fma_f32 v8, -v0, v7, v4
	v_fmac_f32_e32 v7, v8, v3
	v_fma_f32 v0, -v0, v7, v4
	v_div_fmas_f32 v0, v0, v3, v7
	v_div_fixup_f32 v0, v0, v6, v5
	global_store_dword v[1:2], v0, off
.LBB16_6:
	s_endpgm
	.section	.rodata,"a",@progbits
	.p2align	6, 0x0
	.amdhsa_kernel _ZL33flash_attn_stream_k_fixup_uniformILi96ELi8ELi1EEvPfPK15HIP_vector_typeIfLj2EEiiiiiiS1_IjLj3EES5_S5_
		.amdhsa_group_segment_fixed_size 0
		.amdhsa_private_segment_fixed_size 0
		.amdhsa_kernarg_size 76
		.amdhsa_user_sgpr_count 6
		.amdhsa_user_sgpr_private_segment_buffer 1
		.amdhsa_user_sgpr_dispatch_ptr 0
		.amdhsa_user_sgpr_queue_ptr 0
		.amdhsa_user_sgpr_kernarg_segment_ptr 1
		.amdhsa_user_sgpr_dispatch_id 0
		.amdhsa_user_sgpr_flat_scratch_init 0
		.amdhsa_user_sgpr_private_segment_size 0
		.amdhsa_wavefront_size32 1
		.amdhsa_uses_dynamic_stack 0
		.amdhsa_system_sgpr_private_segment_wavefront_offset 0
		.amdhsa_system_sgpr_workgroup_id_x 1
		.amdhsa_system_sgpr_workgroup_id_y 1
		.amdhsa_system_sgpr_workgroup_id_z 1
		.amdhsa_system_sgpr_workgroup_info 0
		.amdhsa_system_vgpr_workitem_id 0
		.amdhsa_next_free_vgpr 15
		.amdhsa_next_free_sgpr 24
		.amdhsa_reserve_vcc 1
		.amdhsa_reserve_flat_scratch 0
		.amdhsa_float_round_mode_32 0
		.amdhsa_float_round_mode_16_64 0
		.amdhsa_float_denorm_mode_32 3
		.amdhsa_float_denorm_mode_16_64 3
		.amdhsa_dx10_clamp 1
		.amdhsa_ieee_mode 1
		.amdhsa_fp16_overflow 0
		.amdhsa_workgroup_processor_mode 1
		.amdhsa_memory_ordered 1
		.amdhsa_forward_progress 1
		.amdhsa_shared_vgpr_count 0
		.amdhsa_exception_fp_ieee_invalid_op 0
		.amdhsa_exception_fp_denorm_src 0
		.amdhsa_exception_fp_ieee_div_zero 0
		.amdhsa_exception_fp_ieee_overflow 0
		.amdhsa_exception_fp_ieee_underflow 0
		.amdhsa_exception_fp_ieee_inexact 0
		.amdhsa_exception_int_div_zero 0
	.end_amdhsa_kernel
	.section	.text._ZL33flash_attn_stream_k_fixup_uniformILi96ELi8ELi1EEvPfPK15HIP_vector_typeIfLj2EEiiiiiiS1_IjLj3EES5_S5_,"axG",@progbits,_ZL33flash_attn_stream_k_fixup_uniformILi96ELi8ELi1EEvPfPK15HIP_vector_typeIfLj2EEiiiiiiS1_IjLj3EES5_S5_,comdat
.Lfunc_end16:
	.size	_ZL33flash_attn_stream_k_fixup_uniformILi96ELi8ELi1EEvPfPK15HIP_vector_typeIfLj2EEiiiiiiS1_IjLj3EES5_S5_, .Lfunc_end16-_ZL33flash_attn_stream_k_fixup_uniformILi96ELi8ELi1EEvPfPK15HIP_vector_typeIfLj2EEiiiiiiS1_IjLj3EES5_S5_
                                        ; -- End function
	.set _ZL33flash_attn_stream_k_fixup_uniformILi96ELi8ELi1EEvPfPK15HIP_vector_typeIfLj2EEiiiiiiS1_IjLj3EES5_S5_.num_vgpr, 15
	.set _ZL33flash_attn_stream_k_fixup_uniformILi96ELi8ELi1EEvPfPK15HIP_vector_typeIfLj2EEiiiiiiS1_IjLj3EES5_S5_.num_agpr, 0
	.set _ZL33flash_attn_stream_k_fixup_uniformILi96ELi8ELi1EEvPfPK15HIP_vector_typeIfLj2EEiiiiiiS1_IjLj3EES5_S5_.numbered_sgpr, 24
	.set _ZL33flash_attn_stream_k_fixup_uniformILi96ELi8ELi1EEvPfPK15HIP_vector_typeIfLj2EEiiiiiiS1_IjLj3EES5_S5_.num_named_barrier, 0
	.set _ZL33flash_attn_stream_k_fixup_uniformILi96ELi8ELi1EEvPfPK15HIP_vector_typeIfLj2EEiiiiiiS1_IjLj3EES5_S5_.private_seg_size, 0
	.set _ZL33flash_attn_stream_k_fixup_uniformILi96ELi8ELi1EEvPfPK15HIP_vector_typeIfLj2EEiiiiiiS1_IjLj3EES5_S5_.uses_vcc, 1
	.set _ZL33flash_attn_stream_k_fixup_uniformILi96ELi8ELi1EEvPfPK15HIP_vector_typeIfLj2EEiiiiiiS1_IjLj3EES5_S5_.uses_flat_scratch, 0
	.set _ZL33flash_attn_stream_k_fixup_uniformILi96ELi8ELi1EEvPfPK15HIP_vector_typeIfLj2EEiiiiiiS1_IjLj3EES5_S5_.has_dyn_sized_stack, 0
	.set _ZL33flash_attn_stream_k_fixup_uniformILi96ELi8ELi1EEvPfPK15HIP_vector_typeIfLj2EEiiiiiiS1_IjLj3EES5_S5_.has_recursion, 0
	.set _ZL33flash_attn_stream_k_fixup_uniformILi96ELi8ELi1EEvPfPK15HIP_vector_typeIfLj2EEiiiiiiS1_IjLj3EES5_S5_.has_indirect_call, 0
	.section	.AMDGPU.csdata,"",@progbits
; Kernel info:
; codeLenInByte = 828
; TotalNumSgprs: 26
; NumVgprs: 15
; ScratchSize: 0
; MemoryBound: 0
; FloatMode: 240
; IeeeMode: 1
; LDSByteSize: 0 bytes/workgroup (compile time only)
; SGPRBlocks: 0
; VGPRBlocks: 1
; NumSGPRsForWavesPerEU: 26
; NumVGPRsForWavesPerEU: 15
; Occupancy: 16
; WaveLimiterHint : 0
; COMPUTE_PGM_RSRC2:SCRATCH_EN: 0
; COMPUTE_PGM_RSRC2:USER_SGPR: 6
; COMPUTE_PGM_RSRC2:TRAP_HANDLER: 0
; COMPUTE_PGM_RSRC2:TGID_X_EN: 1
; COMPUTE_PGM_RSRC2:TGID_Y_EN: 1
; COMPUTE_PGM_RSRC2:TGID_Z_EN: 1
; COMPUTE_PGM_RSRC2:TIDIG_COMP_CNT: 0
	.section	.text._ZL33flash_attn_stream_k_fixup_generalILi96ELi8ELi1EEvPfPK15HIP_vector_typeIfLj2EEiiiiS1_IjLj3EES5_S5_S5_,"axG",@progbits,_ZL33flash_attn_stream_k_fixup_generalILi96ELi8ELi1EEvPfPK15HIP_vector_typeIfLj2EEiiiiS1_IjLj3EES5_S5_S5_,comdat
	.globl	_ZL33flash_attn_stream_k_fixup_generalILi96ELi8ELi1EEvPfPK15HIP_vector_typeIfLj2EEiiiiS1_IjLj3EES5_S5_S5_ ; -- Begin function _ZL33flash_attn_stream_k_fixup_generalILi96ELi8ELi1EEvPfPK15HIP_vector_typeIfLj2EEiiiiS1_IjLj3EES5_S5_S5_
	.p2align	8
	.type	_ZL33flash_attn_stream_k_fixup_generalILi96ELi8ELi1EEvPfPK15HIP_vector_typeIfLj2EEiiiiS1_IjLj3EES5_S5_S5_,@function
_ZL33flash_attn_stream_k_fixup_generalILi96ELi8ELi1EEvPfPK15HIP_vector_typeIfLj2EEiiiiS1_IjLj3EES5_S5_S5_: ; @_ZL33flash_attn_stream_k_fixup_generalILi96ELi8ELi1EEvPfPK15HIP_vector_typeIfLj2EEiiiiS1_IjLj3EES5_S5_S5_
; %bb.0:
	s_clause 0x1
	s_load_dwordx4 s[0:3], s[4:5], 0x10
	s_load_dword s9, s[4:5], 0x50
	s_mov_b32 s16, 0
	s_waitcnt lgkmcnt(0)
	s_mul_hi_i32 s17, s3, s6
	s_mul_i32 s18, s3, s6
	s_cmp_lg_u64 s[16:17], 0
	s_cbranch_scc0 .LBB17_21
; %bb.1:
	s_add_u32 s10, s9, 0
	s_addc_u32 s11, 0, 0
	s_xor_b64 s[10:11], s[10:11], 0
	v_cvt_f32_u32_e32 v1, s10
	v_cvt_f32_u32_e32 v2, s11
	s_sub_u32 s14, 0, s10
	s_subb_u32 s15, 0, s11
	v_fmamk_f32 v1, v2, 0x4f800000, v1
	v_rcp_f32_e32 v1, v1
	v_mul_f32_e32 v1, 0x5f7ffffc, v1
	v_mul_f32_e32 v2, 0x2f800000, v1
	v_trunc_f32_e32 v2, v2
	v_fmamk_f32 v1, v2, 0xcf800000, v1
	v_cvt_u32_f32_e32 v2, v2
	v_cvt_u32_f32_e32 v1, v1
	v_readfirstlane_b32 s12, v2
	v_readfirstlane_b32 s13, v1
	s_mul_i32 s19, s14, s12
	s_mul_hi_u32 s21, s14, s13
	s_mul_i32 s20, s15, s13
	s_add_i32 s19, s21, s19
	s_mul_i32 s22, s14, s13
	s_add_i32 s19, s19, s20
	s_mul_hi_u32 s21, s13, s22
	s_mul_i32 s24, s13, s19
	s_mul_hi_u32 s23, s12, s22
	s_mul_i32 s20, s12, s22
	s_mul_hi_u32 s22, s13, s19
	s_add_u32 s21, s21, s24
	s_addc_u32 s22, 0, s22
	s_mul_hi_u32 s25, s12, s19
	s_add_u32 s20, s21, s20
	s_mul_i32 s19, s12, s19
	s_addc_u32 s20, s22, s23
	s_addc_u32 s21, s25, 0
	s_add_u32 s19, s20, s19
	s_addc_u32 s20, 0, s21
	s_add_u32 s13, s13, s19
	s_cselect_b32 s19, -1, 0
	s_mul_hi_u32 s21, s14, s13
	s_cmp_lg_u32 s19, 0
	s_mul_i32 s19, s14, s13
	s_addc_u32 s12, s12, s20
	s_mul_i32 s15, s15, s13
	s_mul_i32 s14, s14, s12
	s_mul_hi_u32 s20, s13, s19
	s_add_i32 s14, s21, s14
	s_mul_hi_u32 s21, s12, s19
	s_add_i32 s14, s14, s15
	s_mul_i32 s15, s12, s19
	s_mul_i32 s23, s13, s14
	s_mul_hi_u32 s22, s13, s14
	s_add_u32 s20, s20, s23
	s_addc_u32 s22, 0, s22
	s_mul_hi_u32 s19, s12, s14
	s_add_u32 s15, s20, s15
	s_mul_i32 s14, s12, s14
	s_addc_u32 s15, s22, s21
	s_addc_u32 s19, s19, 0
	s_add_u32 s14, s15, s14
	s_addc_u32 s15, 0, s19
	s_add_u32 s19, s13, s14
	s_cselect_b32 s13, -1, 0
	s_cmp_lg_u32 s13, 0
	s_addc_u32 s20, s12, s15
	s_ashr_i32 s12, s17, 31
	s_add_u32 s14, s18, s12
	s_mov_b32 s13, s12
	s_addc_u32 s15, s17, s12
	s_xor_b64 s[14:15], s[14:15], s[12:13]
	s_mul_i32 s21, s14, s20
	s_mul_hi_u32 s22, s14, s19
	s_mul_hi_u32 s17, s14, s20
	;; [unrolled: 1-line block ×3, first 2 shown]
	s_mul_i32 s19, s15, s19
	s_add_u32 s21, s22, s21
	s_addc_u32 s17, 0, s17
	s_mul_hi_u32 s23, s15, s20
	s_add_u32 s19, s21, s19
	s_mul_i32 s20, s15, s20
	s_addc_u32 s17, s17, s24
	s_addc_u32 s19, s23, 0
	s_add_u32 s17, s17, s20
	s_addc_u32 s19, 0, s19
	s_mul_hi_u32 s20, s10, s17
	s_mul_i32 s21, s10, s19
	s_mul_i32 s22, s11, s17
	s_add_i32 s20, s20, s21
	s_mul_i32 s21, s10, s17
	s_add_i32 s20, s20, s22
	s_sub_i32 s22, s15, s20
	s_sub_u32 s14, s14, s21
	s_cselect_b32 s21, -1, 0
	s_cmp_lg_u32 s21, 0
	s_subb_u32 s22, s22, s11
	s_sub_u32 s23, s14, s10
	s_cselect_b32 s24, -1, 0
	s_cmp_lg_u32 s24, 0
	s_subb_u32 s22, s22, 0
	s_cmp_ge_u32 s22, s11
	s_cselect_b32 s24, -1, 0
	s_cmp_ge_u32 s23, s10
	s_cselect_b32 s23, -1, 0
	s_cmp_eq_u32 s22, s11
	s_cselect_b32 s22, s23, s24
	s_add_u32 s23, s17, 1
	s_addc_u32 s24, s19, 0
	s_add_u32 s25, s17, 2
	s_addc_u32 s26, s19, 0
	s_cmp_lg_u32 s22, 0
	s_cselect_b32 s22, s25, s23
	s_cselect_b32 s23, s26, s24
	s_cmp_lg_u32 s21, 0
	s_subb_u32 s15, s15, s20
	s_cmp_ge_u32 s15, s11
	s_cselect_b32 s20, -1, 0
	s_cmp_ge_u32 s14, s10
	s_cselect_b32 s10, -1, 0
	s_cmp_eq_u32 s15, s11
	s_cselect_b32 s10, s10, s20
	s_cmp_lg_u32 s10, 0
	s_cselect_b32 s11, s23, s19
	s_cselect_b32 s10, s22, s17
	s_xor_b64 s[12:13], s[12:13], 0
	s_xor_b64 s[10:11], s[10:11], s[12:13]
	s_sub_u32 s10, s10, s12
	s_load_dwordx4 s[12:15], s[4:5], 0x44
	s_andn2_b32 vcc_lo, exec_lo, s16
	s_cbranch_vccnz .LBB17_3
.LBB17_2:
	v_cvt_f32_u32_e32 v1, s9
	s_sub_i32 s11, 0, s9
	v_rcp_iflag_f32_e32 v1, v1
	v_mul_f32_e32 v1, 0x4f7ffffe, v1
	v_cvt_u32_f32_e32 v1, v1
	v_readfirstlane_b32 s10, v1
	s_mul_i32 s11, s11, s10
	s_mul_hi_u32 s11, s10, s11
	s_add_i32 s10, s10, s11
	s_mul_hi_u32 s10, s18, s10
	s_mul_i32 s11, s10, s9
	s_waitcnt lgkmcnt(0)
	s_add_i32 s15, s10, 1
	s_sub_i32 s11, s18, s11
	s_sub_i32 s16, s11, s9
	s_cmp_ge_u32 s11, s9
	s_cselect_b32 s10, s15, s10
	s_cselect_b32 s11, s16, s11
	s_add_i32 s15, s10, 1
	s_cmp_ge_u32 s11, s9
	s_cselect_b32 s10, s15, s10
.LBB17_3:
	s_add_i32 s11, s6, 1
	s_mov_b32 s16, 0
	s_mul_hi_i32 s17, s3, s11
	s_mul_i32 s11, s3, s11
	s_cmp_lg_u64 s[16:17], 0
	s_cbranch_scc0 .LBB17_22
; %bb.4:
	s_add_u32 s18, s9, 0
	s_addc_u32 s19, 0, 0
	s_xor_b64 s[18:19], s[18:19], 0
	v_cvt_f32_u32_e32 v1, s18
	v_cvt_f32_u32_e32 v2, s19
	s_sub_u32 s21, 0, s18
	s_subb_u32 s22, 0, s19
	v_fmamk_f32 v1, v2, 0x4f800000, v1
	v_rcp_f32_e32 v1, v1
	v_mul_f32_e32 v1, 0x5f7ffffc, v1
	v_mul_f32_e32 v2, 0x2f800000, v1
	v_trunc_f32_e32 v2, v2
	v_fmamk_f32 v1, v2, 0xcf800000, v1
	v_cvt_u32_f32_e32 v2, v2
	v_cvt_u32_f32_e32 v1, v1
	s_waitcnt lgkmcnt(0)
	v_readfirstlane_b32 s15, v2
	v_readfirstlane_b32 s20, v1
	s_mul_i32 s23, s21, s15
	s_mul_hi_u32 s25, s21, s20
	s_mul_i32 s24, s22, s20
	s_add_i32 s23, s25, s23
	s_mul_i32 s26, s21, s20
	s_add_i32 s23, s23, s24
	s_mul_hi_u32 s25, s20, s26
	s_mul_i32 s28, s20, s23
	s_mul_hi_u32 s27, s15, s26
	s_mul_i32 s24, s15, s26
	s_mul_hi_u32 s26, s20, s23
	s_add_u32 s25, s25, s28
	s_addc_u32 s26, 0, s26
	s_mul_hi_u32 s29, s15, s23
	s_add_u32 s24, s25, s24
	s_mul_i32 s23, s15, s23
	s_addc_u32 s24, s26, s27
	s_addc_u32 s25, s29, 0
	s_add_u32 s23, s24, s23
	s_addc_u32 s24, 0, s25
	s_add_u32 s20, s20, s23
	s_cselect_b32 s23, -1, 0
	s_mul_hi_u32 s25, s21, s20
	s_cmp_lg_u32 s23, 0
	s_mul_i32 s23, s21, s20
	s_addc_u32 s15, s15, s24
	s_mul_i32 s22, s22, s20
	s_mul_i32 s21, s21, s15
	s_mul_hi_u32 s24, s20, s23
	s_add_i32 s21, s25, s21
	s_mul_hi_u32 s25, s15, s23
	s_add_i32 s21, s21, s22
	s_mul_i32 s22, s15, s23
	s_mul_i32 s27, s20, s21
	s_mul_hi_u32 s26, s20, s21
	s_add_u32 s24, s24, s27
	s_addc_u32 s26, 0, s26
	s_mul_hi_u32 s23, s15, s21
	s_add_u32 s22, s24, s22
	s_mul_i32 s21, s15, s21
	s_addc_u32 s22, s26, s25
	s_addc_u32 s23, s23, 0
	s_add_u32 s21, s22, s21
	s_addc_u32 s22, 0, s23
	s_add_u32 s24, s20, s21
	s_cselect_b32 s20, -1, 0
	s_cmp_lg_u32 s20, 0
	s_addc_u32 s15, s15, s22
	s_ashr_i32 s20, s17, 31
	s_add_u32 s22, s11, s20
	s_mov_b32 s21, s20
	s_addc_u32 s23, s17, s20
	s_xor_b64 s[22:23], s[22:23], s[20:21]
	s_mul_i32 s25, s22, s15
	s_mul_hi_u32 s26, s22, s24
	s_mul_hi_u32 s17, s22, s15
	s_mul_hi_u32 s28, s23, s24
	s_mul_i32 s24, s23, s24
	s_add_u32 s25, s26, s25
	s_addc_u32 s17, 0, s17
	s_mul_hi_u32 s27, s23, s15
	s_add_u32 s24, s25, s24
	s_mul_i32 s15, s23, s15
	s_addc_u32 s17, s17, s28
	s_addc_u32 s24, s27, 0
	s_add_u32 s15, s17, s15
	s_addc_u32 s17, 0, s24
	s_mul_hi_u32 s24, s18, s15
	s_mul_i32 s25, s18, s17
	s_mul_i32 s26, s19, s15
	s_add_i32 s24, s24, s25
	s_mul_i32 s25, s18, s15
	s_add_i32 s24, s24, s26
	s_sub_i32 s26, s23, s24
	s_sub_u32 s22, s22, s25
	s_cselect_b32 s25, -1, 0
	s_cmp_lg_u32 s25, 0
	s_subb_u32 s26, s26, s19
	s_sub_u32 s27, s22, s18
	s_cselect_b32 s28, -1, 0
	s_cmp_lg_u32 s28, 0
	s_subb_u32 s26, s26, 0
	s_cmp_ge_u32 s26, s19
	s_cselect_b32 s28, -1, 0
	s_cmp_ge_u32 s27, s18
	s_cselect_b32 s27, -1, 0
	s_cmp_eq_u32 s26, s19
	s_cselect_b32 s26, s27, s28
	s_add_u32 s27, s15, 1
	s_addc_u32 s28, s17, 0
	s_add_u32 s29, s15, 2
	s_addc_u32 s30, s17, 0
	s_cmp_lg_u32 s26, 0
	s_cselect_b32 s26, s29, s27
	s_cselect_b32 s27, s30, s28
	s_cmp_lg_u32 s25, 0
	s_subb_u32 s23, s23, s24
	s_cmp_ge_u32 s23, s19
	s_cselect_b32 s24, -1, 0
	s_cmp_ge_u32 s22, s18
	s_cselect_b32 s18, -1, 0
	s_cmp_eq_u32 s23, s19
	s_cselect_b32 s18, s18, s24
	s_cmp_lg_u32 s18, 0
	s_cselect_b32 s19, s27, s17
	s_cselect_b32 s18, s26, s15
	s_xor_b64 s[20:21], s[20:21], 0
	s_xor_b64 s[18:19], s[18:19], s[20:21]
	s_sub_u32 s18, s18, s20
	s_andn2_b32 vcc_lo, exec_lo, s16
	s_cbranch_vccnz .LBB17_6
.LBB17_5:
	v_cvt_f32_u32_e32 v1, s9
	s_sub_i32 s16, 0, s9
	v_rcp_iflag_f32_e32 v1, v1
	v_mul_f32_e32 v1, 0x4f7ffffe, v1
	v_cvt_u32_f32_e32 v1, v1
	s_waitcnt lgkmcnt(0)
	v_readfirstlane_b32 s15, v1
	s_mul_i32 s16, s16, s15
	s_mul_hi_u32 s16, s15, s16
	s_add_i32 s15, s15, s16
	s_mul_hi_u32 s15, s11, s15
	s_mul_i32 s16, s15, s9
	s_sub_i32 s11, s11, s16
	s_add_i32 s16, s15, 1
	s_sub_i32 s17, s11, s9
	s_cmp_ge_u32 s11, s9
	s_cselect_b32 s15, s16, s15
	s_cselect_b32 s11, s17, s11
	s_add_i32 s16, s15, 1
	s_cmp_ge_u32 s11, s9
	s_cselect_b32 s18, s16, s15
.LBB17_6:
	s_cmp_eq_u32 s10, s18
	s_waitcnt lgkmcnt(0)
	s_mul_hi_u32 s11, s10, s12
	s_cselect_b32 s15, -1, 0
	s_add_i32 s11, s11, s10
	s_lshr_b32 s11, s11, s13
	s_mul_i32 s16, s11, s14
	s_cmp_eq_u32 s16, s10
	s_mul_hi_u32 s16, s18, s12
	s_cselect_b32 s17, -1, 0
	s_add_i32 s16, s16, s18
	s_lshr_b32 s16, s16, s13
	s_cmp_eq_u32 s11, s16
	s_mul_i32 s16, s16, s14
	s_cselect_b32 s19, -1, 0
	s_cmp_lg_u32 s16, s18
	s_cselect_b32 s16, -1, 0
	s_or_b32 s15, s15, s17
	s_and_b32 s16, s19, s16
	s_or_b32 s15, s15, s16
	s_and_b32 vcc_lo, exec_lo, s15
	s_cbranch_vccnz .LBB17_24
; %bb.7:
	s_clause 0x1
	s_load_dwordx8 s[20:27], s[4:5], 0x20
	s_load_dword s16, s[4:5], 0x40
	s_waitcnt lgkmcnt(0)
	s_mul_hi_u32 s15, s10, s20
	s_add_i32 s15, s15, s10
	s_lshr_b32 s15, s15, s21
	s_mul_i32 s17, s15, s22
	s_sub_i32 s17, s10, s17
	s_mul_hi_u32 s18, s17, s23
	s_add_i32 s18, s17, s18
	s_lshr_b32 s21, s18, s24
	s_mul_i32 s18, s21, s25
	s_sub_i32 s17, s17, s18
	s_mul_hi_u32 s18, s17, s26
	s_add_i32 s18, s17, s18
	s_lshr_b32 s22, s18, s27
	s_mul_i32 s16, s22, s16
	s_sub_i32 s16, s17, s16
	s_mul_hi_u32 s17, s16, s12
	s_add_i32 s16, s16, s17
	s_lshr_b32 s20, s16, s13
	s_lshl_b32 s16, s20, 3
	s_add_i32 s16, s16, s7
	s_cmp_lt_i32 s16, s0
	s_cselect_b32 s16, -1, 0
	s_add_i32 s22, s22, s8
	s_cmp_lt_i32 s22, s2
	s_cselect_b32 s17, -1, 0
	s_and_b32 s16, s16, s17
	s_andn2_b32 vcc_lo, exec_lo, s16
	s_cbranch_vccnz .LBB17_24
; %bb.8:
	s_load_dwordx4 s[16:19], s[4:5], 0x0
	s_mov_b32 s4, 0
	s_lshl_b32 s24, s9, 5
	s_mov_b32 s25, s4
	s_add_i32 s8, s7, s8
	s_lshl_b64 s[24:25], s[24:25], 2
	s_mul_i32 s0, s15, s0
	s_mul_i32 s21, s21, s2
	v_cvt_f32_u32_e32 v3, s9
	v_rcp_iflag_f32_e32 v3, v3
	s_waitcnt lgkmcnt(0)
	s_add_u32 s2, s18, s24
	s_addc_u32 s15, s19, s25
	s_add_i32 s0, s0, s7
	s_add_i32 s5, s22, s21
	s_mul_i32 s0, s0, s1
	s_mul_i32 s1, s1, s20
	s_add_i32 s0, s5, s0
	s_mulk_i32 s1, 0x300
	s_mulk_i32 s0, 0x60
	v_mul_f32_e32 v7, 0x4f7ffffe, v3
	v_add3_u32 v1, s1, s0, v0
	s_lshl_b32 s0, s6, 3
	s_add_i32 s0, s0, s8
	v_ashrrev_i32_e32 v2, 31, v1
	s_ashr_i32 s1, s0, 31
	s_lshl_b64 s[0:1], s[0:1], 3
	v_lshlrev_b64 v[1:2], 2, v[1:2]
	s_add_u32 s0, s18, s0
	s_addc_u32 s1, s19, s1
	s_load_dwordx2 s[0:1], s[0:1], 0x0
	v_add_co_u32 v1, vcc_lo, s16, v1
	v_add_co_ci_u32_e64 v2, null, s17, v2, vcc_lo
	s_add_i32 s17, s6, -1
	v_mad_u64_u32 v[3:4], null, 0x60, s8, v[0:1]
	global_load_dword v5, v[1:2], off
	v_cvt_u32_f32_e32 v0, v7
	s_sub_i32 s16, 0, s9
	s_waitcnt lgkmcnt(0)
	v_mov_b32_e32 v4, s1
	v_mov_b32_e32 v6, s0
.LBB17_9:                               ; =>This Inner Loop Header: Depth=1
	s_mul_hi_i32 s5, s17, s3
	s_mul_i32 s6, s17, s3
	s_cmp_lg_u64 s[4:5], 0
	s_mov_b32 s7, -1
                                        ; implicit-def: $sgpr0_sgpr1
	s_cbranch_scc0 .LBB17_11
; %bb.10:                               ;   in Loop: Header=BB17_9 Depth=1
	s_add_u32 s0, s9, 0
	s_addc_u32 s1, 0, 0
	s_xor_b64 s[0:1], s[0:1], 0
	v_cvt_f32_u32_e32 v7, s0
	v_cvt_f32_u32_e32 v8, s1
	s_sub_u32 s21, 0, s0
	s_subb_u32 s22, 0, s1
	v_fmac_f32_e32 v7, 0x4f800000, v8
	v_rcp_f32_e32 v7, v7
	v_mul_f32_e32 v7, 0x5f7ffffc, v7
	v_mul_f32_e32 v8, 0x2f800000, v7
	v_trunc_f32_e32 v8, v8
	v_fmac_f32_e32 v7, 0xcf800000, v8
	v_cvt_u32_f32_e32 v8, v8
	v_cvt_u32_f32_e32 v7, v7
	v_readfirstlane_b32 s7, v8
	v_readfirstlane_b32 s20, v7
	s_mul_i32 s23, s21, s7
	s_mul_hi_u32 s25, s21, s20
	s_mul_i32 s24, s22, s20
	s_add_i32 s23, s25, s23
	s_mul_i32 s26, s21, s20
	s_add_i32 s23, s23, s24
	s_mul_hi_u32 s25, s20, s26
	s_mul_i32 s28, s20, s23
	s_mul_hi_u32 s27, s7, s26
	s_mul_i32 s24, s7, s26
	s_mul_hi_u32 s26, s20, s23
	s_add_u32 s25, s25, s28
	s_addc_u32 s26, 0, s26
	s_mul_hi_u32 s29, s7, s23
	s_add_u32 s24, s25, s24
	s_mul_i32 s23, s7, s23
	s_addc_u32 s24, s26, s27
	s_addc_u32 s25, s29, 0
	s_add_u32 s23, s24, s23
	s_addc_u32 s24, 0, s25
	s_add_u32 s20, s20, s23
	s_cselect_b32 s23, -1, 0
	s_mul_hi_u32 s25, s21, s20
	s_cmp_lg_u32 s23, 0
	s_mul_i32 s23, s21, s20
	s_addc_u32 s7, s7, s24
	s_mul_i32 s22, s22, s20
	s_mul_i32 s21, s21, s7
	s_mul_hi_u32 s24, s20, s23
	s_add_i32 s21, s25, s21
	s_mul_hi_u32 s25, s7, s23
	s_add_i32 s21, s21, s22
	s_mul_i32 s22, s7, s23
	s_mul_i32 s27, s20, s21
	s_mul_hi_u32 s26, s20, s21
	s_add_u32 s24, s24, s27
	s_addc_u32 s26, 0, s26
	s_mul_hi_u32 s23, s7, s21
	s_add_u32 s22, s24, s22
	s_mul_i32 s21, s7, s21
	s_addc_u32 s22, s26, s25
	s_addc_u32 s23, s23, 0
	s_add_u32 s21, s22, s21
	s_addc_u32 s22, 0, s23
	s_add_u32 s24, s20, s21
	s_cselect_b32 s20, -1, 0
	s_cmp_lg_u32 s20, 0
	s_addc_u32 s7, s7, s22
	s_ashr_i32 s20, s5, 31
	s_add_u32 s22, s6, s20
	s_mov_b32 s21, s20
	s_addc_u32 s23, s5, s20
	s_xor_b64 s[22:23], s[22:23], s[20:21]
	s_mul_i32 s25, s22, s7
	s_mul_hi_u32 s26, s22, s24
	s_mul_hi_u32 s5, s22, s7
	;; [unrolled: 1-line block ×3, first 2 shown]
	s_mul_i32 s24, s23, s24
	s_add_u32 s25, s26, s25
	s_addc_u32 s5, 0, s5
	s_mul_hi_u32 s27, s23, s7
	s_add_u32 s24, s25, s24
	s_mul_i32 s7, s23, s7
	s_addc_u32 s5, s5, s28
	s_addc_u32 s24, s27, 0
	s_add_u32 s5, s5, s7
	s_addc_u32 s7, 0, s24
	s_mul_hi_u32 s24, s0, s5
	s_mul_i32 s25, s0, s7
	s_mul_i32 s26, s1, s5
	s_add_i32 s24, s24, s25
	s_mul_i32 s25, s0, s5
	s_add_i32 s24, s24, s26
	s_sub_i32 s26, s23, s24
	s_sub_u32 s22, s22, s25
	s_cselect_b32 s25, -1, 0
	s_cmp_lg_u32 s25, 0
	s_subb_u32 s26, s26, s1
	s_sub_u32 s27, s22, s0
	s_cselect_b32 s28, -1, 0
	s_cmp_lg_u32 s28, 0
	s_subb_u32 s26, s26, 0
	s_cmp_ge_u32 s26, s1
	s_cselect_b32 s28, -1, 0
	s_cmp_ge_u32 s27, s0
	s_cselect_b32 s27, -1, 0
	s_cmp_eq_u32 s26, s1
	s_cselect_b32 s26, s27, s28
	s_add_u32 s27, s5, 1
	s_addc_u32 s28, s7, 0
	s_add_u32 s29, s5, 2
	s_addc_u32 s30, s7, 0
	s_cmp_lg_u32 s26, 0
	s_cselect_b32 s26, s29, s27
	s_cselect_b32 s27, s30, s28
	s_cmp_lg_u32 s25, 0
	s_subb_u32 s23, s23, s24
	s_cmp_ge_u32 s23, s1
	s_cselect_b32 s24, -1, 0
	s_cmp_ge_u32 s22, s0
	s_cselect_b32 s0, -1, 0
	s_cmp_eq_u32 s23, s1
	s_cselect_b32 s0, s0, s24
	s_cmp_lg_u32 s0, 0
	s_cselect_b32 s1, s27, s7
	s_cselect_b32 s0, s26, s5
	s_xor_b64 s[20:21], s[20:21], 0
	s_mov_b32 s7, 0
	s_xor_b64 s[0:1], s[0:1], s[20:21]
	s_sub_u32 s0, s0, s20
.LBB17_11:                              ;   in Loop: Header=BB17_9 Depth=1
	s_andn2_b32 vcc_lo, exec_lo, s7
	s_cbranch_vccnz .LBB17_13
; %bb.12:                               ;   in Loop: Header=BB17_9 Depth=1
	v_readfirstlane_b32 s0, v0
	s_mul_i32 s1, s16, s0
	s_mul_hi_u32 s1, s0, s1
	s_add_i32 s0, s0, s1
	s_mul_hi_u32 s0, s6, s0
	s_mul_i32 s1, s0, s9
	s_add_i32 s5, s0, 1
	s_sub_i32 s1, s6, s1
	s_sub_i32 s6, s1, s9
	s_cmp_ge_u32 s1, s9
	s_cselect_b32 s0, s5, s0
	s_cselect_b32 s1, s6, s1
	s_add_i32 s5, s0, 1
	s_cmp_ge_u32 s1, s9
	s_cselect_b32 s0, s5, s0
.LBB17_13:                              ;   in Loop: Header=BB17_9 Depth=1
	s_cmp_lg_u32 s10, s0
	s_mov_b32 s6, -1
                                        ; implicit-def: $sgpr5
                                        ; implicit-def: $vgpr8
                                        ; implicit-def: $vgpr7
                                        ; implicit-def: $vgpr9
                                        ; implicit-def: $sgpr1
                                        ; implicit-def: $sgpr20
	s_cbranch_scc0 .LBB17_18
; %bb.14:                               ;   in Loop: Header=BB17_9 Depth=1
	s_add_i32 s1, s17, s9
	s_mov_b32 s7, s4
	s_lshl_b32 s1, s1, 3
	s_mov_b32 s20, s10
	s_add_i32 s6, s1, s8
	s_mul_hi_u32 s1, s0, s12
	s_lshl_b64 s[6:7], s[6:7], 3
	s_add_u32 s6, s18, s6
	s_addc_u32 s7, s19, s7
	s_add_i32 s1, s1, s0
	s_lshr_b32 s1, s1, s13
	s_mul_i32 s5, s1, s14
	s_cmp_eq_u32 s5, s0
	s_cselect_b32 s5, -1, 0
	s_cmp_lt_u32 s1, s11
	s_cselect_b32 s1, -1, 0
	s_or_b32 s1, s1, s5
	s_mov_b32 s5, -1
	s_and_b32 vcc_lo, exec_lo, s1
	s_mov_b32 s1, s17
	s_cbranch_vccnz .LBB17_16
; %bb.15:                               ;   in Loop: Header=BB17_9 Depth=1
	s_add_i32 s1, s17, -1
	s_mov_b32 s5, 0
	s_mov_b32 s20, s0
.LBB17_16:                              ;   in Loop: Header=BB17_9 Depth=1
	v_mad_u64_u32 v[7:8], null, 0x300, s17, v[3:4]
	s_load_dwordx2 s[6:7], s[6:7], 0x0
	v_ashrrev_i32_e32 v8, 31, v7
	v_lshlrev_b64 v[7:8], 2, v[7:8]
	v_add_co_u32 v7, vcc_lo, s2, v7
	v_add_co_ci_u32_e64 v8, null, s15, v8, vcc_lo
	s_waitcnt lgkmcnt(0)
	v_max_f32_e64 v9, s6, s6
	global_load_dword v8, v[7:8], off
	v_max_f32_e32 v7, v6, v6
	v_max_f32_e32 v7, v7, v9
	v_sub_f32_e32 v9, s6, v7
	v_sub_f32_e32 v10, v6, v7
	v_mul_f32_e32 v11, 0x3fb8aa3b, v9
	v_mul_f32_e32 v12, 0x3fb8aa3b, v10
	v_cmp_ngt_f32_e32 vcc_lo, 0xc2ce8ed0, v9
	v_fma_f32 v13, 0x3fb8aa3b, v9, -v11
	v_rndne_f32_e32 v14, v11
	v_fma_f32 v15, 0x3fb8aa3b, v10, -v12
	v_rndne_f32_e32 v16, v12
	v_fmac_f32_e32 v13, 0x32a5705f, v9
	v_sub_f32_e32 v11, v11, v14
	v_fmac_f32_e32 v15, 0x32a5705f, v10
	v_sub_f32_e32 v12, v12, v16
	v_add_f32_e32 v11, v11, v13
	v_cvt_i32_f32_e32 v13, v14
	v_add_f32_e32 v12, v12, v15
	v_cvt_i32_f32_e32 v14, v16
	v_exp_f32_e32 v11, v11
	v_exp_f32_e32 v12, v12
	v_ldexp_f32 v11, v11, v13
	v_ldexp_f32 v12, v12, v14
	v_cndmask_b32_e32 v11, 0, v11, vcc_lo
	v_cmp_ngt_f32_e32 vcc_lo, 0xc2ce8ed0, v10
	v_cndmask_b32_e32 v12, 0, v12, vcc_lo
	v_cmp_nlt_f32_e32 vcc_lo, 0x42b17218, v9
	v_cndmask_b32_e32 v11, 0x7f800000, v11, vcc_lo
	v_cmp_nlt_f32_e32 vcc_lo, 0x42b17218, v10
	v_cndmask_b32_e32 v12, 0x7f800000, v12, vcc_lo
	v_cmp_le_f32_e32 vcc_lo, 0xc1a00000, v9
	v_cndmask_b32_e32 v9, 0, v11, vcc_lo
	v_cmp_le_f32_e32 vcc_lo, 0xc1a00000, v10
	v_cndmask_b32_e32 v10, 0, v12, vcc_lo
	s_waitcnt vmcnt(0)
	v_mul_f32_e32 v8, v8, v9
	v_mul_f32_e32 v9, s7, v9
	v_fmac_f32_e32 v8, v5, v10
	v_fmac_f32_e32 v9, v4, v10
	s_cbranch_execz .LBB17_19
.LBB17_17:                              ;   in Loop: Header=BB17_9 Depth=1
	s_andn2_b32 vcc_lo, exec_lo, s5
	s_cbranch_vccnz .LBB17_20
	s_branch .LBB17_23
.LBB17_18:                              ;   in Loop: Header=BB17_9 Depth=1
	s_andn2_b32 vcc_lo, exec_lo, s6
	s_cbranch_vccnz .LBB17_17
.LBB17_19:                              ;   in Loop: Header=BB17_9 Depth=1
	v_mov_b32_e32 v9, v4
	v_mov_b32_e32 v7, v6
	s_waitcnt vmcnt(0)
	v_mov_b32_e32 v8, v5
	s_add_i32 s1, s17, -1
	s_mov_b32 s20, s10
	s_cbranch_execz .LBB17_23
.LBB17_20:                              ;   in Loop: Header=BB17_9 Depth=1
	v_mov_b32_e32 v4, v9
	v_mov_b32_e32 v6, v7
	s_waitcnt vmcnt(0)
	v_mov_b32_e32 v5, v8
	s_mov_b32 s10, s20
	s_mov_b32 s17, s1
	s_branch .LBB17_9
.LBB17_21:
                                        ; implicit-def: $sgpr10_sgpr11
	s_load_dwordx4 s[12:15], s[4:5], 0x44
	s_branch .LBB17_2
.LBB17_22:
                                        ; implicit-def: $sgpr18_sgpr19
	s_branch .LBB17_5
.LBB17_23:
	v_div_scale_f32 v0, null, v9, v9, v8
	v_rcp_f32_e32 v3, v0
	v_fma_f32 v4, -v0, v3, 1.0
	v_fmac_f32_e32 v3, v4, v3
	v_div_scale_f32 v4, vcc_lo, v8, v9, v8
	s_waitcnt vmcnt(0)
	v_mul_f32_e32 v5, v4, v3
	v_fma_f32 v6, -v0, v5, v4
	v_fmac_f32_e32 v5, v6, v3
	v_fma_f32 v0, -v0, v5, v4
	v_div_fmas_f32 v0, v0, v3, v5
	v_div_fixup_f32 v0, v0, v9, v8
	global_store_dword v[1:2], v0, off
.LBB17_24:
	s_endpgm
	.section	.rodata,"a",@progbits
	.p2align	6, 0x0
	.amdhsa_kernel _ZL33flash_attn_stream_k_fixup_generalILi96ELi8ELi1EEvPfPK15HIP_vector_typeIfLj2EEiiiiS1_IjLj3EES5_S5_S5_
		.amdhsa_group_segment_fixed_size 0
		.amdhsa_private_segment_fixed_size 0
		.amdhsa_kernarg_size 336
		.amdhsa_user_sgpr_count 6
		.amdhsa_user_sgpr_private_segment_buffer 1
		.amdhsa_user_sgpr_dispatch_ptr 0
		.amdhsa_user_sgpr_queue_ptr 0
		.amdhsa_user_sgpr_kernarg_segment_ptr 1
		.amdhsa_user_sgpr_dispatch_id 0
		.amdhsa_user_sgpr_flat_scratch_init 0
		.amdhsa_user_sgpr_private_segment_size 0
		.amdhsa_wavefront_size32 1
		.amdhsa_uses_dynamic_stack 0
		.amdhsa_system_sgpr_private_segment_wavefront_offset 0
		.amdhsa_system_sgpr_workgroup_id_x 1
		.amdhsa_system_sgpr_workgroup_id_y 1
		.amdhsa_system_sgpr_workgroup_id_z 1
		.amdhsa_system_sgpr_workgroup_info 0
		.amdhsa_system_vgpr_workitem_id 0
		.amdhsa_next_free_vgpr 17
		.amdhsa_next_free_sgpr 31
		.amdhsa_reserve_vcc 1
		.amdhsa_reserve_flat_scratch 0
		.amdhsa_float_round_mode_32 0
		.amdhsa_float_round_mode_16_64 0
		.amdhsa_float_denorm_mode_32 3
		.amdhsa_float_denorm_mode_16_64 3
		.amdhsa_dx10_clamp 1
		.amdhsa_ieee_mode 1
		.amdhsa_fp16_overflow 0
		.amdhsa_workgroup_processor_mode 1
		.amdhsa_memory_ordered 1
		.amdhsa_forward_progress 1
		.amdhsa_shared_vgpr_count 0
		.amdhsa_exception_fp_ieee_invalid_op 0
		.amdhsa_exception_fp_denorm_src 0
		.amdhsa_exception_fp_ieee_div_zero 0
		.amdhsa_exception_fp_ieee_overflow 0
		.amdhsa_exception_fp_ieee_underflow 0
		.amdhsa_exception_fp_ieee_inexact 0
		.amdhsa_exception_int_div_zero 0
	.end_amdhsa_kernel
	.section	.text._ZL33flash_attn_stream_k_fixup_generalILi96ELi8ELi1EEvPfPK15HIP_vector_typeIfLj2EEiiiiS1_IjLj3EES5_S5_S5_,"axG",@progbits,_ZL33flash_attn_stream_k_fixup_generalILi96ELi8ELi1EEvPfPK15HIP_vector_typeIfLj2EEiiiiS1_IjLj3EES5_S5_S5_,comdat
.Lfunc_end17:
	.size	_ZL33flash_attn_stream_k_fixup_generalILi96ELi8ELi1EEvPfPK15HIP_vector_typeIfLj2EEiiiiS1_IjLj3EES5_S5_S5_, .Lfunc_end17-_ZL33flash_attn_stream_k_fixup_generalILi96ELi8ELi1EEvPfPK15HIP_vector_typeIfLj2EEiiiiS1_IjLj3EES5_S5_S5_
                                        ; -- End function
	.set _ZL33flash_attn_stream_k_fixup_generalILi96ELi8ELi1EEvPfPK15HIP_vector_typeIfLj2EEiiiiS1_IjLj3EES5_S5_S5_.num_vgpr, 17
	.set _ZL33flash_attn_stream_k_fixup_generalILi96ELi8ELi1EEvPfPK15HIP_vector_typeIfLj2EEiiiiS1_IjLj3EES5_S5_S5_.num_agpr, 0
	.set _ZL33flash_attn_stream_k_fixup_generalILi96ELi8ELi1EEvPfPK15HIP_vector_typeIfLj2EEiiiiS1_IjLj3EES5_S5_S5_.numbered_sgpr, 31
	.set _ZL33flash_attn_stream_k_fixup_generalILi96ELi8ELi1EEvPfPK15HIP_vector_typeIfLj2EEiiiiS1_IjLj3EES5_S5_S5_.num_named_barrier, 0
	.set _ZL33flash_attn_stream_k_fixup_generalILi96ELi8ELi1EEvPfPK15HIP_vector_typeIfLj2EEiiiiS1_IjLj3EES5_S5_S5_.private_seg_size, 0
	.set _ZL33flash_attn_stream_k_fixup_generalILi96ELi8ELi1EEvPfPK15HIP_vector_typeIfLj2EEiiiiS1_IjLj3EES5_S5_S5_.uses_vcc, 1
	.set _ZL33flash_attn_stream_k_fixup_generalILi96ELi8ELi1EEvPfPK15HIP_vector_typeIfLj2EEiiiiS1_IjLj3EES5_S5_S5_.uses_flat_scratch, 0
	.set _ZL33flash_attn_stream_k_fixup_generalILi96ELi8ELi1EEvPfPK15HIP_vector_typeIfLj2EEiiiiS1_IjLj3EES5_S5_S5_.has_dyn_sized_stack, 0
	.set _ZL33flash_attn_stream_k_fixup_generalILi96ELi8ELi1EEvPfPK15HIP_vector_typeIfLj2EEiiiiS1_IjLj3EES5_S5_S5_.has_recursion, 0
	.set _ZL33flash_attn_stream_k_fixup_generalILi96ELi8ELi1EEvPfPK15HIP_vector_typeIfLj2EEiiiiS1_IjLj3EES5_S5_S5_.has_indirect_call, 0
	.section	.AMDGPU.csdata,"",@progbits
; Kernel info:
; codeLenInByte = 2940
; TotalNumSgprs: 33
; NumVgprs: 17
; ScratchSize: 0
; MemoryBound: 0
; FloatMode: 240
; IeeeMode: 1
; LDSByteSize: 0 bytes/workgroup (compile time only)
; SGPRBlocks: 0
; VGPRBlocks: 2
; NumSGPRsForWavesPerEU: 33
; NumVGPRsForWavesPerEU: 17
; Occupancy: 16
; WaveLimiterHint : 0
; COMPUTE_PGM_RSRC2:SCRATCH_EN: 0
; COMPUTE_PGM_RSRC2:USER_SGPR: 6
; COMPUTE_PGM_RSRC2:TRAP_HANDLER: 0
; COMPUTE_PGM_RSRC2:TGID_X_EN: 1
; COMPUTE_PGM_RSRC2:TGID_Y_EN: 1
; COMPUTE_PGM_RSRC2:TGID_Z_EN: 1
; COMPUTE_PGM_RSRC2:TIDIG_COMP_CNT: 0
	.section	.text._ZL26flash_attn_combine_resultsILi96EEvPKfPK15HIP_vector_typeIfLj2EEPfi,"axG",@progbits,_ZL26flash_attn_combine_resultsILi96EEvPKfPK15HIP_vector_typeIfLj2EEPfi,comdat
	.globl	_ZL26flash_attn_combine_resultsILi96EEvPKfPK15HIP_vector_typeIfLj2EEPfi ; -- Begin function _ZL26flash_attn_combine_resultsILi96EEvPKfPK15HIP_vector_typeIfLj2EEPfi
	.p2align	8
	.type	_ZL26flash_attn_combine_resultsILi96EEvPKfPK15HIP_vector_typeIfLj2EEPfi,@function
_ZL26flash_attn_combine_resultsILi96EEvPKfPK15HIP_vector_typeIfLj2EEPfi: ; @_ZL26flash_attn_combine_resultsILi96EEvPKfPK15HIP_vector_typeIfLj2EEPfi
; %bb.0:
	s_clause 0x3
	s_load_dwordx2 s[2:3], s[4:5], 0x20
	s_load_dword s16, s[4:5], 0x18
	s_load_dwordx4 s[12:15], s[4:5], 0x0
	s_load_dwordx2 s[10:11], s[4:5], 0x10
	v_lshlrev_b32_e32 v7, 2, v0
	s_mov_b32 s4, exec_lo
	s_waitcnt lgkmcnt(0)
	s_mul_i32 s0, s2, s8
	s_lshl_b32 s1, s16, 1
	s_add_i32 s0, s0, s6
	s_mul_i32 s0, s0, s3
	s_add_i32 s7, s0, s7
	s_mul_i32 s2, s7, s16
	v_cmpx_gt_i32_e64 s1, v0
	s_cbranch_execz .LBB18_3
; %bb.1:
	s_ashr_i32 s3, s2, 31
	v_add_nc_u32_e32 v3, 0, v7
	s_lshl_b64 s[8:9], s[2:3], 3
	v_mov_b32_e32 v4, v0
	s_add_u32 s0, s14, s8
	s_addc_u32 s3, s15, s9
	v_add_co_u32 v1, s0, s0, v7
	v_add_co_ci_u32_e64 v2, null, s3, 0, s0
	s_mov_b32 s3, 0
	.p2align	6
.LBB18_2:                               ; =>This Inner Loop Header: Depth=1
	global_load_dword v5, v[1:2], off
	v_add_nc_u32_e32 v4, 0x60, v4
	v_add_co_u32 v1, vcc_lo, 0x180, v1
	v_add_co_ci_u32_e64 v2, null, 0, v2, vcc_lo
	v_cmp_le_i32_e64 s0, s1, v4
	s_or_b32 s3, s0, s3
	s_waitcnt vmcnt(0)
	ds_write_b32 v3, v5
	v_add_nc_u32_e32 v3, 0x180, v3
	s_andn2_b32 exec_lo, exec_lo, s3
	s_cbranch_execnz .LBB18_2
.LBB18_3:
	s_or_b32 exec_lo, exec_lo, s4
	v_mov_b32_e32 v1, 0
	s_waitcnt lgkmcnt(0)
	s_barrier
	buffer_gl0_inv
	s_cmp_lt_i32 s16, 2
	ds_read_b32 v8, v1
	s_cbranch_scc1 .LBB18_11
; %bb.4:
	s_add_i32 s1, s16, -2
	s_add_i32 s0, s16, -1
	s_cmp_lt_u32 s1, 7
	s_cbranch_scc1 .LBB18_8
; %bb.5:
	s_mov_b32 s3, 0
	s_add_i32 s1, 0, 8
	s_and_b32 s4, s0, -8
	.p2align	6
.LBB18_6:                               ; =>This Inner Loop Header: Depth=1
	v_mov_b32_e32 v9, s1
	s_mov_b32 s5, s3
	s_add_i32 s3, s3, 8
	s_add_i32 s1, s1, 64
	s_cmp_eq_u32 s4, s3
	ds_read2_b32 v[1:2], v9 offset1:2
	ds_read2_b32 v[3:4], v9 offset0:4 offset1:6
	ds_read2_b32 v[5:6], v9 offset0:8 offset1:10
	;; [unrolled: 1-line block ×3, first 2 shown]
	s_waitcnt lgkmcnt(3)
	v_max3_f32 v1, v8, v1, v2
	s_waitcnt lgkmcnt(2)
	v_max3_f32 v1, v1, v3, v4
	;; [unrolled: 2-line block ×4, first 2 shown]
	s_cbranch_scc0 .LBB18_6
; %bb.7:
	s_add_i32 s1, s5, 9
	s_and_b32 s0, s0, 7
	s_cmp_eq_u32 s0, 0
	s_cbranch_scc0 .LBB18_9
	s_branch .LBB18_11
.LBB18_8:
	s_mov_b32 s1, 1
	s_and_b32 s0, s0, 7
	s_cmp_eq_u32 s0, 0
	s_cbranch_scc1 .LBB18_11
.LBB18_9:
	s_lshl_b32 s1, s1, 3
	s_add_i32 s1, s1, 0
.LBB18_10:                              ; =>This Inner Loop Header: Depth=1
	v_mov_b32_e32 v1, s1
	s_waitcnt lgkmcnt(0)
	v_max_f32_e32 v2, v8, v8
	s_add_i32 s0, s0, -1
	s_add_i32 s1, s1, 8
	s_cmp_lg_u32 s0, 0
	ds_read_b32 v1, v1
	s_waitcnt lgkmcnt(0)
	v_max_f32_e32 v1, v1, v1
	v_max_f32_e32 v8, v2, v1
	s_cbranch_scc1 .LBB18_10
.LBB18_11:
	s_cmp_lt_i32 s16, 1
	s_cbranch_scc1 .LBB18_16
; %bb.12:
	s_mul_i32 s8, s2, 0x60
	s_ashr_i32 s9, s8, 31
	s_cmp_lt_u32 s16, 8
	s_cbranch_scc1 .LBB18_17
; %bb.13:
	s_lshl_b64 s[0:1], s[8:9], 2
	v_mov_b32_e32 v2, 0
	s_add_u32 s15, s12, s0
	s_addc_u32 s17, s13, s1
	v_add_co_u32 v1, s0, s15, v7
	v_add_co_ci_u32_e64 v4, null, s17, 0, s0
	v_add_nc_u32_e32 v5, 0x2a0, v0
	v_add_co_u32 v3, vcc_lo, 0x180, v1
	v_add_co_ci_u32_e64 v4, null, 0, v4, vcc_lo
	v_mov_b32_e32 v9, 0
	v_mov_b32_e32 v10, 0
	s_and_b32 s14, s16, 0x7ffffff8
	s_mov_b32 s18, 0
	s_mov_b32 s19, 0
.LBB18_14:                              ; =>This Inner Loop Header: Depth=1
	v_add_nc_u32_e32 v1, 0xfffffd60, v5
	v_mov_b32_e32 v6, v2
	global_load_dword v27, v[3:4], off
	v_mov_b32_e32 v23, s19
	s_add_i32 s18, s18, 8
	v_lshlrev_b64 v[11:12], 2, v[1:2]
	v_add_nc_u32_e32 v1, 0xfffffe20, v5
	v_lshlrev_b64 v[13:14], 2, v[5:6]
	s_add_i32 s19, s19, 64
	s_cmp_eq_u32 s14, s18
	v_lshlrev_b64 v[15:16], 2, v[1:2]
	v_add_nc_u32_e32 v1, 0xfffffe80, v5
	v_add_co_u32 v11, vcc_lo, s15, v11
	v_add_co_ci_u32_e64 v12, null, s17, v12, vcc_lo
	v_lshlrev_b64 v[17:18], 2, v[1:2]
	v_add_nc_u32_e32 v1, 0xfffffee0, v5
	global_load_dword v6, v[11:12], off
	v_add_co_u32 v11, vcc_lo, s15, v15
	v_add_co_ci_u32_e64 v12, null, s17, v16, vcc_lo
	v_add_co_u32 v17, vcc_lo, s15, v17
	v_lshlrev_b64 v[15:16], 2, v[1:2]
	v_add_nc_u32_e32 v1, 0xffffff40, v5
	v_add_co_ci_u32_e64 v18, null, s17, v18, vcc_lo
	global_load_dword v28, v[11:12], off
	v_add_co_u32 v15, vcc_lo, s15, v15
	global_load_dword v29, v[17:18], off
	v_lshlrev_b64 v[11:12], 2, v[1:2]
	v_add_nc_u32_e32 v1, 0xffffffa0, v5
	v_add_co_ci_u32_e64 v16, null, s17, v16, vcc_lo
	v_add_nc_u32_e32 v5, 0x300, v5
	v_add_co_u32 v11, vcc_lo, s15, v11
	v_lshlrev_b64 v[17:18], 2, v[1:2]
	v_add_co_ci_u32_e64 v12, null, s17, v12, vcc_lo
	s_clause 0x1
	global_load_dword v1, v[15:16], off
	global_load_dword v30, v[11:12], off
	v_add_co_u32 v11, vcc_lo, s15, v17
	v_add_co_ci_u32_e64 v12, null, s17, v18, vcc_lo
	v_add_co_u32 v13, vcc_lo, s15, v13
	v_add_co_ci_u32_e64 v14, null, s17, v14, vcc_lo
	s_clause 0x1
	global_load_dword v31, v[11:12], off
	global_load_dword v32, v[13:14], off
	ds_read2_b64 v[11:14], v23 offset1:1
	ds_read2_b64 v[15:18], v23 offset0:2 offset1:3
	ds_read2_b64 v[19:22], v23 offset0:4 offset1:5
	ds_read2_b64 v[23:26], v23 offset0:6 offset1:7
	s_waitcnt lgkmcnt(3)
	v_sub_f32_e32 v11, v11, v8
	v_sub_f32_e32 v13, v13, v8
	s_waitcnt lgkmcnt(2)
	v_sub_f32_e32 v15, v15, v8
	v_sub_f32_e32 v17, v17, v8
	s_waitcnt lgkmcnt(1)
	v_sub_f32_e32 v19, v19, v8
	v_mul_f32_e32 v33, 0x3fb8aa3b, v11
	v_mul_f32_e32 v34, 0x3fb8aa3b, v13
	;; [unrolled: 1-line block ×4, first 2 shown]
	v_sub_f32_e32 v21, v21, v8
	v_fma_f32 v41, 0x3fb8aa3b, v11, -v33
	v_rndne_f32_e32 v42, v33
	v_fma_f32 v43, 0x3fb8aa3b, v13, -v34
	v_rndne_f32_e32 v44, v34
	v_fma_f32 v45, 0x3fb8aa3b, v15, -v35
	v_fmac_f32_e32 v41, 0x32a5705f, v11
	v_sub_f32_e32 v33, v33, v42
	v_fmac_f32_e32 v43, 0x32a5705f, v13
	v_sub_f32_e32 v34, v34, v44
	v_rndne_f32_e32 v46, v35
	v_mul_f32_e32 v37, 0x3fb8aa3b, v19
	v_add_f32_e32 v33, v33, v41
	v_fma_f32 v47, 0x3fb8aa3b, v17, -v36
	v_add_f32_e32 v34, v34, v43
	v_rndne_f32_e32 v48, v36
	v_fmac_f32_e32 v45, 0x32a5705f, v15
	v_sub_f32_e32 v35, v35, v46
	v_exp_f32_e32 v33, v33
	v_exp_f32_e32 v34, v34
	s_waitcnt lgkmcnt(0)
	v_sub_f32_e32 v23, v23, v8
	v_mul_f32_e32 v38, 0x3fb8aa3b, v21
	v_fma_f32 v49, 0x3fb8aa3b, v19, -v37
	v_rndne_f32_e32 v50, v37
	v_add_f32_e32 v35, v35, v45
	v_fmac_f32_e32 v47, 0x32a5705f, v17
	v_sub_f32_e32 v36, v36, v48
	v_cvt_i32_f32_e32 v42, v42
	v_cvt_i32_f32_e32 v44, v44
	v_sub_f32_e32 v25, v25, v8
	v_mul_f32_e32 v39, 0x3fb8aa3b, v23
	v_fma_f32 v51, 0x3fb8aa3b, v21, -v38
	v_rndne_f32_e32 v41, v38
	v_add_f32_e32 v36, v36, v47
	v_fmac_f32_e32 v49, 0x32a5705f, v19
	v_sub_f32_e32 v37, v37, v50
	v_exp_f32_e32 v35, v35
	v_ldexp_f32 v33, v33, v42
	v_ldexp_f32 v34, v34, v44
	v_cmp_ngt_f32_e32 vcc_lo, 0xc2ce8ed0, v13
	v_cmp_ngt_f32_e64 s6, 0xc2ce8ed0, v11
	v_mul_f32_e32 v40, 0x3fb8aa3b, v25
	v_fma_f32 v43, 0x3fb8aa3b, v23, -v39
	v_rndne_f32_e32 v45, v39
	v_add_f32_e32 v37, v37, v49
	v_cvt_i32_f32_e32 v46, v46
	v_fmac_f32_e32 v51, 0x32a5705f, v21
	v_sub_f32_e32 v38, v38, v41
	v_exp_f32_e32 v36, v36
	v_cndmask_b32_e64 v33, 0, v33, s6
	v_cndmask_b32_e32 v34, 0, v34, vcc_lo
	v_cmp_nlt_f32_e32 vcc_lo, 0x42b17218, v11
	v_fma_f32 v47, 0x3fb8aa3b, v25, -v40
	v_rndne_f32_e32 v49, v40
	v_cvt_i32_f32_e32 v48, v48
	v_fmac_f32_e32 v43, 0x32a5705f, v23
	v_sub_f32_e32 v39, v39, v45
	v_add_f32_e32 v38, v38, v51
	v_exp_f32_e32 v37, v37
	v_ldexp_f32 v35, v35, v46
	v_cmp_ngt_f32_e64 s0, 0xc2ce8ed0, v15
	v_cndmask_b32_e32 v11, 0x7f800000, v33, vcc_lo
	v_cmp_nlt_f32_e32 vcc_lo, 0x42b17218, v13
	v_cvt_i32_f32_e32 v50, v50
	v_fmac_f32_e32 v47, 0x32a5705f, v25
	v_sub_f32_e32 v40, v40, v49
	v_add_f32_e32 v39, v39, v43
	v_exp_f32_e32 v38, v38
	v_ldexp_f32 v36, v36, v48
	v_cmp_ngt_f32_e64 s1, 0xc2ce8ed0, v17
	v_cndmask_b32_e64 v35, 0, v35, s0
	v_cndmask_b32_e32 v13, 0x7f800000, v34, vcc_lo
	v_fmac_f32_e32 v9, v11, v12
	v_cmp_nlt_f32_e32 vcc_lo, 0x42b17218, v15
	v_cvt_i32_f32_e32 v41, v41
	v_add_f32_e32 v40, v40, v47
	v_exp_f32_e32 v39, v39
	v_ldexp_f32 v37, v37, v50
	v_cmp_ngt_f32_e64 s2, 0xc2ce8ed0, v19
	v_cndmask_b32_e64 v36, 0, v36, s1
	v_fmac_f32_e32 v9, v13, v14
	v_cvt_i32_f32_e32 v45, v45
	v_exp_f32_e32 v40, v40
	v_ldexp_f32 v38, v38, v41
	v_cmp_ngt_f32_e64 s3, 0xc2ce8ed0, v21
	v_cndmask_b32_e64 v37, 0, v37, s2
	v_cvt_i32_f32_e32 v49, v49
	v_ldexp_f32 v39, v39, v45
	v_cmp_ngt_f32_e64 s4, 0xc2ce8ed0, v23
	v_cndmask_b32_e64 v38, 0, v38, s3
	v_cmp_ngt_f32_e64 s5, 0xc2ce8ed0, v25
	v_cmp_nlt_f32_e64 s0, 0x42b17218, v25
	v_ldexp_f32 v40, v40, v49
	v_cndmask_b32_e64 v39, 0, v39, s4
	v_cndmask_b32_e64 v40, 0, v40, s5
	s_waitcnt vmcnt(6)
	v_fmac_f32_e32 v10, v6, v11
	v_cndmask_b32_e32 v6, 0x7f800000, v35, vcc_lo
	v_cmp_nlt_f32_e32 vcc_lo, 0x42b17218, v17
	v_fmac_f32_e32 v10, v27, v13
	v_fmac_f32_e32 v9, v6, v16
	v_cndmask_b32_e32 v11, 0x7f800000, v36, vcc_lo
	v_cmp_nlt_f32_e32 vcc_lo, 0x42b17218, v19
	s_waitcnt vmcnt(5)
	v_fmac_f32_e32 v10, v28, v6
	v_fmac_f32_e32 v9, v11, v18
	v_cndmask_b32_e32 v6, 0x7f800000, v37, vcc_lo
	v_cmp_nlt_f32_e32 vcc_lo, 0x42b17218, v21
	s_waitcnt vmcnt(4)
	v_fmac_f32_e32 v10, v29, v11
	v_fmac_f32_e32 v9, v6, v20
	v_cndmask_b32_e32 v11, 0x7f800000, v38, vcc_lo
	v_cmp_nlt_f32_e32 vcc_lo, 0x42b17218, v23
	v_fmac_f32_e32 v9, v11, v22
	s_waitcnt vmcnt(3)
	v_fmac_f32_e32 v10, v1, v6
	v_cndmask_b32_e32 v1, 0x7f800000, v39, vcc_lo
	v_cndmask_b32_e64 v6, 0x7f800000, v40, s0
	v_add_co_u32 v3, vcc_lo, 0xc00, v3
	s_waitcnt vmcnt(2)
	v_fmac_f32_e32 v10, v30, v11
	v_fmac_f32_e32 v9, v1, v24
	v_add_co_ci_u32_e64 v4, null, 0, v4, vcc_lo
	s_waitcnt vmcnt(1)
	v_fmac_f32_e32 v10, v31, v1
	v_fmac_f32_e32 v9, v6, v26
	s_waitcnt vmcnt(0)
	v_fmac_f32_e32 v10, v32, v6
	s_cbranch_scc0 .LBB18_14
; %bb.15:
	s_and_b32 s1, s16, 7
	s_cmp_eq_u32 s1, 0
	s_cbranch_scc0 .LBB18_18
	s_branch .LBB18_20
.LBB18_16:
	v_mov_b32_e32 v0, 0x7fc00000
	s_branch .LBB18_21
.LBB18_17:
	v_mov_b32_e32 v10, 0
	v_mov_b32_e32 v9, 0
	s_mov_b32 s14, 0
	s_and_b32 s1, s16, 7
	s_cmp_eq_u32 s1, 0
	s_cbranch_scc1 .LBB18_20
.LBB18_18:
	v_mad_u64_u32 v[0:1], null, 0x60, s14, v[0:1]
	v_mov_b32_e32 v1, 0
	s_lshl_b64 s[2:3], s[8:9], 2
	s_add_u32 s0, s12, s2
	s_addc_u32 s2, s13, s3
	v_lshlrev_b64 v[0:1], 2, v[0:1]
	v_add_co_u32 v0, vcc_lo, s0, v0
	v_add_co_ci_u32_e64 v1, null, s2, v1, vcc_lo
	s_lshl_b32 s0, s14, 3
	s_add_i32 s2, s0, 0
	s_inst_prefetch 0x1
	.p2align	6
.LBB18_19:                              ; =>This Inner Loop Header: Depth=1
	global_load_dword v4, v[0:1], off
	v_mov_b32_e32 v2, s2
	s_add_i32 s1, s1, -1
	s_add_i32 s2, s2, 8
	s_cmp_lg_u32 s1, 0
	ds_read_b64 v[2:3], v2
	s_waitcnt lgkmcnt(0)
	v_sub_f32_e32 v2, v2, v8
	v_mul_f32_e32 v5, 0x3fb8aa3b, v2
	v_cmp_ngt_f32_e32 vcc_lo, 0xc2ce8ed0, v2
	v_cmp_nlt_f32_e64 s0, 0x42b17218, v2
	v_fma_f32 v6, 0x3fb8aa3b, v2, -v5
	v_rndne_f32_e32 v11, v5
	v_fmac_f32_e32 v6, 0x32a5705f, v2
	v_sub_f32_e32 v5, v5, v11
	v_add_f32_e32 v5, v5, v6
	v_cvt_i32_f32_e32 v6, v11
	v_exp_f32_e32 v5, v5
	v_ldexp_f32 v5, v5, v6
	v_cndmask_b32_e32 v5, 0, v5, vcc_lo
	v_add_co_u32 v0, vcc_lo, 0x180, v0
	v_add_co_ci_u32_e64 v1, null, 0, v1, vcc_lo
	v_cndmask_b32_e64 v2, 0x7f800000, v5, s0
	v_fmac_f32_e32 v9, v2, v3
	s_waitcnt vmcnt(0)
	v_fmac_f32_e32 v10, v4, v2
	s_cbranch_scc1 .LBB18_19
.LBB18_20:
	s_inst_prefetch 0x2
	v_div_scale_f32 v0, null, v9, v9, v10
	v_rcp_f32_e32 v1, v0
	v_fma_f32 v2, -v0, v1, 1.0
	v_fmac_f32_e32 v1, v2, v1
	v_div_scale_f32 v2, vcc_lo, v10, v9, v10
	v_mul_f32_e32 v3, v2, v1
	v_fma_f32 v4, -v0, v3, v2
	v_fmac_f32_e32 v3, v4, v1
	v_fma_f32 v0, -v0, v3, v2
	v_div_fmas_f32 v0, v0, v1, v3
	v_div_fixup_f32 v0, v0, v9, v10
.LBB18_21:
	s_mul_i32 s0, s7, 0x60
	s_ashr_i32 s1, s0, 31
	s_lshl_b64 s[0:1], s[0:1], 2
	s_add_u32 s0, s10, s0
	s_addc_u32 s1, s11, s1
	global_store_dword v7, v0, s[0:1]
	s_endpgm
	.section	.rodata,"a",@progbits
	.p2align	6, 0x0
	.amdhsa_kernel _ZL26flash_attn_combine_resultsILi96EEvPKfPK15HIP_vector_typeIfLj2EEPfi
		.amdhsa_group_segment_fixed_size 0
		.amdhsa_private_segment_fixed_size 0
		.amdhsa_kernarg_size 288
		.amdhsa_user_sgpr_count 6
		.amdhsa_user_sgpr_private_segment_buffer 1
		.amdhsa_user_sgpr_dispatch_ptr 0
		.amdhsa_user_sgpr_queue_ptr 0
		.amdhsa_user_sgpr_kernarg_segment_ptr 1
		.amdhsa_user_sgpr_dispatch_id 0
		.amdhsa_user_sgpr_flat_scratch_init 0
		.amdhsa_user_sgpr_private_segment_size 0
		.amdhsa_wavefront_size32 1
		.amdhsa_uses_dynamic_stack 0
		.amdhsa_system_sgpr_private_segment_wavefront_offset 0
		.amdhsa_system_sgpr_workgroup_id_x 1
		.amdhsa_system_sgpr_workgroup_id_y 1
		.amdhsa_system_sgpr_workgroup_id_z 1
		.amdhsa_system_sgpr_workgroup_info 0
		.amdhsa_system_vgpr_workitem_id 0
		.amdhsa_next_free_vgpr 52
		.amdhsa_next_free_sgpr 20
		.amdhsa_reserve_vcc 1
		.amdhsa_reserve_flat_scratch 0
		.amdhsa_float_round_mode_32 0
		.amdhsa_float_round_mode_16_64 0
		.amdhsa_float_denorm_mode_32 3
		.amdhsa_float_denorm_mode_16_64 3
		.amdhsa_dx10_clamp 1
		.amdhsa_ieee_mode 1
		.amdhsa_fp16_overflow 0
		.amdhsa_workgroup_processor_mode 1
		.amdhsa_memory_ordered 1
		.amdhsa_forward_progress 1
		.amdhsa_shared_vgpr_count 0
		.amdhsa_exception_fp_ieee_invalid_op 0
		.amdhsa_exception_fp_denorm_src 0
		.amdhsa_exception_fp_ieee_div_zero 0
		.amdhsa_exception_fp_ieee_overflow 0
		.amdhsa_exception_fp_ieee_underflow 0
		.amdhsa_exception_fp_ieee_inexact 0
		.amdhsa_exception_int_div_zero 0
	.end_amdhsa_kernel
	.section	.text._ZL26flash_attn_combine_resultsILi96EEvPKfPK15HIP_vector_typeIfLj2EEPfi,"axG",@progbits,_ZL26flash_attn_combine_resultsILi96EEvPKfPK15HIP_vector_typeIfLj2EEPfi,comdat
.Lfunc_end18:
	.size	_ZL26flash_attn_combine_resultsILi96EEvPKfPK15HIP_vector_typeIfLj2EEPfi, .Lfunc_end18-_ZL26flash_attn_combine_resultsILi96EEvPKfPK15HIP_vector_typeIfLj2EEPfi
                                        ; -- End function
	.set _ZL26flash_attn_combine_resultsILi96EEvPKfPK15HIP_vector_typeIfLj2EEPfi.num_vgpr, 52
	.set _ZL26flash_attn_combine_resultsILi96EEvPKfPK15HIP_vector_typeIfLj2EEPfi.num_agpr, 0
	.set _ZL26flash_attn_combine_resultsILi96EEvPKfPK15HIP_vector_typeIfLj2EEPfi.numbered_sgpr, 20
	.set _ZL26flash_attn_combine_resultsILi96EEvPKfPK15HIP_vector_typeIfLj2EEPfi.num_named_barrier, 0
	.set _ZL26flash_attn_combine_resultsILi96EEvPKfPK15HIP_vector_typeIfLj2EEPfi.private_seg_size, 0
	.set _ZL26flash_attn_combine_resultsILi96EEvPKfPK15HIP_vector_typeIfLj2EEPfi.uses_vcc, 1
	.set _ZL26flash_attn_combine_resultsILi96EEvPKfPK15HIP_vector_typeIfLj2EEPfi.uses_flat_scratch, 0
	.set _ZL26flash_attn_combine_resultsILi96EEvPKfPK15HIP_vector_typeIfLj2EEPfi.has_dyn_sized_stack, 0
	.set _ZL26flash_attn_combine_resultsILi96EEvPKfPK15HIP_vector_typeIfLj2EEPfi.has_recursion, 0
	.set _ZL26flash_attn_combine_resultsILi96EEvPKfPK15HIP_vector_typeIfLj2EEPfi.has_indirect_call, 0
	.section	.AMDGPU.csdata,"",@progbits
; Kernel info:
; codeLenInByte = 2328
; TotalNumSgprs: 22
; NumVgprs: 52
; ScratchSize: 0
; MemoryBound: 0
; FloatMode: 240
; IeeeMode: 1
; LDSByteSize: 0 bytes/workgroup (compile time only)
; SGPRBlocks: 0
; VGPRBlocks: 6
; NumSGPRsForWavesPerEU: 22
; NumVGPRsForWavesPerEU: 52
; Occupancy: 16
; WaveLimiterHint : 0
; COMPUTE_PGM_RSRC2:SCRATCH_EN: 0
; COMPUTE_PGM_RSRC2:USER_SGPR: 6
; COMPUTE_PGM_RSRC2:TRAP_HANDLER: 0
; COMPUTE_PGM_RSRC2:TGID_X_EN: 1
; COMPUTE_PGM_RSRC2:TGID_Y_EN: 1
; COMPUTE_PGM_RSRC2:TGID_Z_EN: 1
; COMPUTE_PGM_RSRC2:TIDIG_COMP_CNT: 0
	.section	.text._ZL18flash_attn_ext_f16ILi112ELi112ELi8ELi1ELb0ELb0EEvPKcS1_S1_S1_S1_PKiPfP15HIP_vector_typeIfLj2EEffffjfiS5_IjLj3EEiiiiiiiiiiiliiliiiiil,"axG",@progbits,_ZL18flash_attn_ext_f16ILi112ELi112ELi8ELi1ELb0ELb0EEvPKcS1_S1_S1_S1_PKiPfP15HIP_vector_typeIfLj2EEffffjfiS5_IjLj3EEiiiiiiiiiiiliiliiiiil,comdat
	.globl	_ZL18flash_attn_ext_f16ILi112ELi112ELi8ELi1ELb0ELb0EEvPKcS1_S1_S1_S1_PKiPfP15HIP_vector_typeIfLj2EEffffjfiS5_IjLj3EEiiiiiiiiiiiliiliiiiil ; -- Begin function _ZL18flash_attn_ext_f16ILi112ELi112ELi8ELi1ELb0ELb0EEvPKcS1_S1_S1_S1_PKiPfP15HIP_vector_typeIfLj2EEffffjfiS5_IjLj3EEiiiiiiiiiiiliiliiiiil
	.p2align	8
	.type	_ZL18flash_attn_ext_f16ILi112ELi112ELi8ELi1ELb0ELb0EEvPKcS1_S1_S1_S1_PKiPfP15HIP_vector_typeIfLj2EEffffjfiS5_IjLj3EEiiiiiiiiiiiliiliiiiil,@function
_ZL18flash_attn_ext_f16ILi112ELi112ELi8ELi1ELb0ELb0EEvPKcS1_S1_S1_S1_PKiPfP15HIP_vector_typeIfLj2EEffffjfiS5_IjLj3EEiiiiiiiiiiiliiliiiiil: ; @_ZL18flash_attn_ext_f16ILi112ELi112ELi8ELi1ELb0ELb0EEvPKcS1_S1_S1_S1_PKiPfP15HIP_vector_typeIfLj2EEffffjfiS5_IjLj3EEiiiiiiiiiiiliiliiiiil
; %bb.0:
	s_add_u32 s0, s0, s7
	s_addc_u32 s1, s1, 0
	s_add_u32 s8, s4, 0xd0
	s_addc_u32 s9, s5, 0
	s_getpc_b64 s[4:5]
	s_add_u32 s4, s4, _ZL14no_device_codePKciS0_iS0_@rel32@lo+4
	s_addc_u32 s5, s5, _ZL14no_device_codePKciS0_iS0_@rel32@hi+12
	s_mov_b32 s32, 0
	s_swappc_b64 s[30:31], s[4:5]
	.section	.rodata,"a",@progbits
	.p2align	6, 0x0
	.amdhsa_kernel _ZL18flash_attn_ext_f16ILi112ELi112ELi8ELi1ELb0ELb0EEvPKcS1_S1_S1_S1_PKiPfP15HIP_vector_typeIfLj2EEffffjfiS5_IjLj3EEiiiiiiiiiiiliiliiiiil
		.amdhsa_group_segment_fixed_size 0
		.amdhsa_private_segment_fixed_size 16
		.amdhsa_kernarg_size 464
		.amdhsa_user_sgpr_count 6
		.amdhsa_user_sgpr_private_segment_buffer 1
		.amdhsa_user_sgpr_dispatch_ptr 0
		.amdhsa_user_sgpr_queue_ptr 0
		.amdhsa_user_sgpr_kernarg_segment_ptr 1
		.amdhsa_user_sgpr_dispatch_id 0
		.amdhsa_user_sgpr_flat_scratch_init 0
		.amdhsa_user_sgpr_private_segment_size 0
		.amdhsa_wavefront_size32 1
		.amdhsa_uses_dynamic_stack 0
		.amdhsa_system_sgpr_private_segment_wavefront_offset 1
		.amdhsa_system_sgpr_workgroup_id_x 1
		.amdhsa_system_sgpr_workgroup_id_y 0
		.amdhsa_system_sgpr_workgroup_id_z 0
		.amdhsa_system_sgpr_workgroup_info 0
		.amdhsa_system_vgpr_workitem_id 0
		.amdhsa_next_free_vgpr 40
		.amdhsa_next_free_sgpr 34
		.amdhsa_reserve_vcc 1
		.amdhsa_reserve_flat_scratch 0
		.amdhsa_float_round_mode_32 0
		.amdhsa_float_round_mode_16_64 0
		.amdhsa_float_denorm_mode_32 3
		.amdhsa_float_denorm_mode_16_64 3
		.amdhsa_dx10_clamp 1
		.amdhsa_ieee_mode 1
		.amdhsa_fp16_overflow 0
		.amdhsa_workgroup_processor_mode 1
		.amdhsa_memory_ordered 1
		.amdhsa_forward_progress 1
		.amdhsa_shared_vgpr_count 0
		.amdhsa_exception_fp_ieee_invalid_op 0
		.amdhsa_exception_fp_denorm_src 0
		.amdhsa_exception_fp_ieee_div_zero 0
		.amdhsa_exception_fp_ieee_overflow 0
		.amdhsa_exception_fp_ieee_underflow 0
		.amdhsa_exception_fp_ieee_inexact 0
		.amdhsa_exception_int_div_zero 0
	.end_amdhsa_kernel
	.section	.text._ZL18flash_attn_ext_f16ILi112ELi112ELi8ELi1ELb0ELb0EEvPKcS1_S1_S1_S1_PKiPfP15HIP_vector_typeIfLj2EEffffjfiS5_IjLj3EEiiiiiiiiiiiliiliiiiil,"axG",@progbits,_ZL18flash_attn_ext_f16ILi112ELi112ELi8ELi1ELb0ELb0EEvPKcS1_S1_S1_S1_PKiPfP15HIP_vector_typeIfLj2EEffffjfiS5_IjLj3EEiiiiiiiiiiiliiliiiiil,comdat
.Lfunc_end19:
	.size	_ZL18flash_attn_ext_f16ILi112ELi112ELi8ELi1ELb0ELb0EEvPKcS1_S1_S1_S1_PKiPfP15HIP_vector_typeIfLj2EEffffjfiS5_IjLj3EEiiiiiiiiiiiliiliiiiil, .Lfunc_end19-_ZL18flash_attn_ext_f16ILi112ELi112ELi8ELi1ELb0ELb0EEvPKcS1_S1_S1_S1_PKiPfP15HIP_vector_typeIfLj2EEffffjfiS5_IjLj3EEiiiiiiiiiiiliiliiiiil
                                        ; -- End function
	.set _ZL18flash_attn_ext_f16ILi112ELi112ELi8ELi1ELb0ELb0EEvPKcS1_S1_S1_S1_PKiPfP15HIP_vector_typeIfLj2EEffffjfiS5_IjLj3EEiiiiiiiiiiiliiliiiiil.num_vgpr, max(0, .L_ZL14no_device_codePKciS0_iS0_.num_vgpr)
	.set _ZL18flash_attn_ext_f16ILi112ELi112ELi8ELi1ELb0ELb0EEvPKcS1_S1_S1_S1_PKiPfP15HIP_vector_typeIfLj2EEffffjfiS5_IjLj3EEiiiiiiiiiiiliiliiiiil.num_agpr, max(0, .L_ZL14no_device_codePKciS0_iS0_.num_agpr)
	.set _ZL18flash_attn_ext_f16ILi112ELi112ELi8ELi1ELb0ELb0EEvPKcS1_S1_S1_S1_PKiPfP15HIP_vector_typeIfLj2EEffffjfiS5_IjLj3EEiiiiiiiiiiiliiliiiiil.numbered_sgpr, max(33, .L_ZL14no_device_codePKciS0_iS0_.numbered_sgpr)
	.set _ZL18flash_attn_ext_f16ILi112ELi112ELi8ELi1ELb0ELb0EEvPKcS1_S1_S1_S1_PKiPfP15HIP_vector_typeIfLj2EEffffjfiS5_IjLj3EEiiiiiiiiiiiliiliiiiil.num_named_barrier, max(0, .L_ZL14no_device_codePKciS0_iS0_.num_named_barrier)
	.set _ZL18flash_attn_ext_f16ILi112ELi112ELi8ELi1ELb0ELb0EEvPKcS1_S1_S1_S1_PKiPfP15HIP_vector_typeIfLj2EEffffjfiS5_IjLj3EEiiiiiiiiiiiliiliiiiil.private_seg_size, 0+max(.L_ZL14no_device_codePKciS0_iS0_.private_seg_size)
	.set _ZL18flash_attn_ext_f16ILi112ELi112ELi8ELi1ELb0ELb0EEvPKcS1_S1_S1_S1_PKiPfP15HIP_vector_typeIfLj2EEffffjfiS5_IjLj3EEiiiiiiiiiiiliiliiiiil.uses_vcc, or(1, .L_ZL14no_device_codePKciS0_iS0_.uses_vcc)
	.set _ZL18flash_attn_ext_f16ILi112ELi112ELi8ELi1ELb0ELb0EEvPKcS1_S1_S1_S1_PKiPfP15HIP_vector_typeIfLj2EEffffjfiS5_IjLj3EEiiiiiiiiiiiliiliiiiil.uses_flat_scratch, or(0, .L_ZL14no_device_codePKciS0_iS0_.uses_flat_scratch)
	.set _ZL18flash_attn_ext_f16ILi112ELi112ELi8ELi1ELb0ELb0EEvPKcS1_S1_S1_S1_PKiPfP15HIP_vector_typeIfLj2EEffffjfiS5_IjLj3EEiiiiiiiiiiiliiliiiiil.has_dyn_sized_stack, or(0, .L_ZL14no_device_codePKciS0_iS0_.has_dyn_sized_stack)
	.set _ZL18flash_attn_ext_f16ILi112ELi112ELi8ELi1ELb0ELb0EEvPKcS1_S1_S1_S1_PKiPfP15HIP_vector_typeIfLj2EEffffjfiS5_IjLj3EEiiiiiiiiiiiliiliiiiil.has_recursion, or(0, .L_ZL14no_device_codePKciS0_iS0_.has_recursion)
	.set _ZL18flash_attn_ext_f16ILi112ELi112ELi8ELi1ELb0ELb0EEvPKcS1_S1_S1_S1_PKiPfP15HIP_vector_typeIfLj2EEffffjfiS5_IjLj3EEiiiiiiiiiiiliiliiiiil.has_indirect_call, or(0, .L_ZL14no_device_codePKciS0_iS0_.has_indirect_call)
	.section	.AMDGPU.csdata,"",@progbits
; Kernel info:
; codeLenInByte = 48
; TotalNumSgprs: 36
; NumVgprs: 40
; ScratchSize: 16
; MemoryBound: 0
; FloatMode: 240
; IeeeMode: 1
; LDSByteSize: 0 bytes/workgroup (compile time only)
; SGPRBlocks: 0
; VGPRBlocks: 4
; NumSGPRsForWavesPerEU: 36
; NumVGPRsForWavesPerEU: 40
; Occupancy: 16
; WaveLimiterHint : 1
; COMPUTE_PGM_RSRC2:SCRATCH_EN: 1
; COMPUTE_PGM_RSRC2:USER_SGPR: 6
; COMPUTE_PGM_RSRC2:TRAP_HANDLER: 0
; COMPUTE_PGM_RSRC2:TGID_X_EN: 1
; COMPUTE_PGM_RSRC2:TGID_Y_EN: 0
; COMPUTE_PGM_RSRC2:TGID_Z_EN: 0
; COMPUTE_PGM_RSRC2:TIDIG_COMP_CNT: 0
	.section	.text._ZL18flash_attn_ext_f16ILi112ELi112ELi8ELi1ELb1ELb0EEvPKcS1_S1_S1_S1_PKiPfP15HIP_vector_typeIfLj2EEffffjfiS5_IjLj3EEiiiiiiiiiiiliiliiiiil,"axG",@progbits,_ZL18flash_attn_ext_f16ILi112ELi112ELi8ELi1ELb1ELb0EEvPKcS1_S1_S1_S1_PKiPfP15HIP_vector_typeIfLj2EEffffjfiS5_IjLj3EEiiiiiiiiiiiliiliiiiil,comdat
	.globl	_ZL18flash_attn_ext_f16ILi112ELi112ELi8ELi1ELb1ELb0EEvPKcS1_S1_S1_S1_PKiPfP15HIP_vector_typeIfLj2EEffffjfiS5_IjLj3EEiiiiiiiiiiiliiliiiiil ; -- Begin function _ZL18flash_attn_ext_f16ILi112ELi112ELi8ELi1ELb1ELb0EEvPKcS1_S1_S1_S1_PKiPfP15HIP_vector_typeIfLj2EEffffjfiS5_IjLj3EEiiiiiiiiiiiliiliiiiil
	.p2align	8
	.type	_ZL18flash_attn_ext_f16ILi112ELi112ELi8ELi1ELb1ELb0EEvPKcS1_S1_S1_S1_PKiPfP15HIP_vector_typeIfLj2EEffffjfiS5_IjLj3EEiiiiiiiiiiiliiliiiiil,@function
_ZL18flash_attn_ext_f16ILi112ELi112ELi8ELi1ELb1ELb0EEvPKcS1_S1_S1_S1_PKiPfP15HIP_vector_typeIfLj2EEffffjfiS5_IjLj3EEiiiiiiiiiiiliiliiiiil: ; @_ZL18flash_attn_ext_f16ILi112ELi112ELi8ELi1ELb1ELb0EEvPKcS1_S1_S1_S1_PKiPfP15HIP_vector_typeIfLj2EEffffjfiS5_IjLj3EEiiiiiiiiiiiliiliiiiil
; %bb.0:
	s_add_u32 s0, s0, s7
	s_addc_u32 s1, s1, 0
	s_add_u32 s8, s4, 0xd0
	s_addc_u32 s9, s5, 0
	s_getpc_b64 s[4:5]
	s_add_u32 s4, s4, _ZL14no_device_codePKciS0_iS0_@rel32@lo+4
	s_addc_u32 s5, s5, _ZL14no_device_codePKciS0_iS0_@rel32@hi+12
	s_mov_b32 s32, 0
	s_swappc_b64 s[30:31], s[4:5]
	.section	.rodata,"a",@progbits
	.p2align	6, 0x0
	.amdhsa_kernel _ZL18flash_attn_ext_f16ILi112ELi112ELi8ELi1ELb1ELb0EEvPKcS1_S1_S1_S1_PKiPfP15HIP_vector_typeIfLj2EEffffjfiS5_IjLj3EEiiiiiiiiiiiliiliiiiil
		.amdhsa_group_segment_fixed_size 0
		.amdhsa_private_segment_fixed_size 16
		.amdhsa_kernarg_size 464
		.amdhsa_user_sgpr_count 6
		.amdhsa_user_sgpr_private_segment_buffer 1
		.amdhsa_user_sgpr_dispatch_ptr 0
		.amdhsa_user_sgpr_queue_ptr 0
		.amdhsa_user_sgpr_kernarg_segment_ptr 1
		.amdhsa_user_sgpr_dispatch_id 0
		.amdhsa_user_sgpr_flat_scratch_init 0
		.amdhsa_user_sgpr_private_segment_size 0
		.amdhsa_wavefront_size32 1
		.amdhsa_uses_dynamic_stack 0
		.amdhsa_system_sgpr_private_segment_wavefront_offset 1
		.amdhsa_system_sgpr_workgroup_id_x 1
		.amdhsa_system_sgpr_workgroup_id_y 0
		.amdhsa_system_sgpr_workgroup_id_z 0
		.amdhsa_system_sgpr_workgroup_info 0
		.amdhsa_system_vgpr_workitem_id 0
		.amdhsa_next_free_vgpr 40
		.amdhsa_next_free_sgpr 34
		.amdhsa_reserve_vcc 1
		.amdhsa_reserve_flat_scratch 0
		.amdhsa_float_round_mode_32 0
		.amdhsa_float_round_mode_16_64 0
		.amdhsa_float_denorm_mode_32 3
		.amdhsa_float_denorm_mode_16_64 3
		.amdhsa_dx10_clamp 1
		.amdhsa_ieee_mode 1
		.amdhsa_fp16_overflow 0
		.amdhsa_workgroup_processor_mode 1
		.amdhsa_memory_ordered 1
		.amdhsa_forward_progress 1
		.amdhsa_shared_vgpr_count 0
		.amdhsa_exception_fp_ieee_invalid_op 0
		.amdhsa_exception_fp_denorm_src 0
		.amdhsa_exception_fp_ieee_div_zero 0
		.amdhsa_exception_fp_ieee_overflow 0
		.amdhsa_exception_fp_ieee_underflow 0
		.amdhsa_exception_fp_ieee_inexact 0
		.amdhsa_exception_int_div_zero 0
	.end_amdhsa_kernel
	.section	.text._ZL18flash_attn_ext_f16ILi112ELi112ELi8ELi1ELb1ELb0EEvPKcS1_S1_S1_S1_PKiPfP15HIP_vector_typeIfLj2EEffffjfiS5_IjLj3EEiiiiiiiiiiiliiliiiiil,"axG",@progbits,_ZL18flash_attn_ext_f16ILi112ELi112ELi8ELi1ELb1ELb0EEvPKcS1_S1_S1_S1_PKiPfP15HIP_vector_typeIfLj2EEffffjfiS5_IjLj3EEiiiiiiiiiiiliiliiiiil,comdat
.Lfunc_end20:
	.size	_ZL18flash_attn_ext_f16ILi112ELi112ELi8ELi1ELb1ELb0EEvPKcS1_S1_S1_S1_PKiPfP15HIP_vector_typeIfLj2EEffffjfiS5_IjLj3EEiiiiiiiiiiiliiliiiiil, .Lfunc_end20-_ZL18flash_attn_ext_f16ILi112ELi112ELi8ELi1ELb1ELb0EEvPKcS1_S1_S1_S1_PKiPfP15HIP_vector_typeIfLj2EEffffjfiS5_IjLj3EEiiiiiiiiiiiliiliiiiil
                                        ; -- End function
	.set _ZL18flash_attn_ext_f16ILi112ELi112ELi8ELi1ELb1ELb0EEvPKcS1_S1_S1_S1_PKiPfP15HIP_vector_typeIfLj2EEffffjfiS5_IjLj3EEiiiiiiiiiiiliiliiiiil.num_vgpr, max(0, .L_ZL14no_device_codePKciS0_iS0_.num_vgpr)
	.set _ZL18flash_attn_ext_f16ILi112ELi112ELi8ELi1ELb1ELb0EEvPKcS1_S1_S1_S1_PKiPfP15HIP_vector_typeIfLj2EEffffjfiS5_IjLj3EEiiiiiiiiiiiliiliiiiil.num_agpr, max(0, .L_ZL14no_device_codePKciS0_iS0_.num_agpr)
	.set _ZL18flash_attn_ext_f16ILi112ELi112ELi8ELi1ELb1ELb0EEvPKcS1_S1_S1_S1_PKiPfP15HIP_vector_typeIfLj2EEffffjfiS5_IjLj3EEiiiiiiiiiiiliiliiiiil.numbered_sgpr, max(33, .L_ZL14no_device_codePKciS0_iS0_.numbered_sgpr)
	.set _ZL18flash_attn_ext_f16ILi112ELi112ELi8ELi1ELb1ELb0EEvPKcS1_S1_S1_S1_PKiPfP15HIP_vector_typeIfLj2EEffffjfiS5_IjLj3EEiiiiiiiiiiiliiliiiiil.num_named_barrier, max(0, .L_ZL14no_device_codePKciS0_iS0_.num_named_barrier)
	.set _ZL18flash_attn_ext_f16ILi112ELi112ELi8ELi1ELb1ELb0EEvPKcS1_S1_S1_S1_PKiPfP15HIP_vector_typeIfLj2EEffffjfiS5_IjLj3EEiiiiiiiiiiiliiliiiiil.private_seg_size, 0+max(.L_ZL14no_device_codePKciS0_iS0_.private_seg_size)
	.set _ZL18flash_attn_ext_f16ILi112ELi112ELi8ELi1ELb1ELb0EEvPKcS1_S1_S1_S1_PKiPfP15HIP_vector_typeIfLj2EEffffjfiS5_IjLj3EEiiiiiiiiiiiliiliiiiil.uses_vcc, or(1, .L_ZL14no_device_codePKciS0_iS0_.uses_vcc)
	.set _ZL18flash_attn_ext_f16ILi112ELi112ELi8ELi1ELb1ELb0EEvPKcS1_S1_S1_S1_PKiPfP15HIP_vector_typeIfLj2EEffffjfiS5_IjLj3EEiiiiiiiiiiiliiliiiiil.uses_flat_scratch, or(0, .L_ZL14no_device_codePKciS0_iS0_.uses_flat_scratch)
	.set _ZL18flash_attn_ext_f16ILi112ELi112ELi8ELi1ELb1ELb0EEvPKcS1_S1_S1_S1_PKiPfP15HIP_vector_typeIfLj2EEffffjfiS5_IjLj3EEiiiiiiiiiiiliiliiiiil.has_dyn_sized_stack, or(0, .L_ZL14no_device_codePKciS0_iS0_.has_dyn_sized_stack)
	.set _ZL18flash_attn_ext_f16ILi112ELi112ELi8ELi1ELb1ELb0EEvPKcS1_S1_S1_S1_PKiPfP15HIP_vector_typeIfLj2EEffffjfiS5_IjLj3EEiiiiiiiiiiiliiliiiiil.has_recursion, or(0, .L_ZL14no_device_codePKciS0_iS0_.has_recursion)
	.set _ZL18flash_attn_ext_f16ILi112ELi112ELi8ELi1ELb1ELb0EEvPKcS1_S1_S1_S1_PKiPfP15HIP_vector_typeIfLj2EEffffjfiS5_IjLj3EEiiiiiiiiiiiliiliiiiil.has_indirect_call, or(0, .L_ZL14no_device_codePKciS0_iS0_.has_indirect_call)
	.section	.AMDGPU.csdata,"",@progbits
; Kernel info:
; codeLenInByte = 48
; TotalNumSgprs: 36
; NumVgprs: 40
; ScratchSize: 16
; MemoryBound: 0
; FloatMode: 240
; IeeeMode: 1
; LDSByteSize: 0 bytes/workgroup (compile time only)
; SGPRBlocks: 0
; VGPRBlocks: 4
; NumSGPRsForWavesPerEU: 36
; NumVGPRsForWavesPerEU: 40
; Occupancy: 16
; WaveLimiterHint : 1
; COMPUTE_PGM_RSRC2:SCRATCH_EN: 1
; COMPUTE_PGM_RSRC2:USER_SGPR: 6
; COMPUTE_PGM_RSRC2:TRAP_HANDLER: 0
; COMPUTE_PGM_RSRC2:TGID_X_EN: 1
; COMPUTE_PGM_RSRC2:TGID_Y_EN: 0
; COMPUTE_PGM_RSRC2:TGID_Z_EN: 0
; COMPUTE_PGM_RSRC2:TIDIG_COMP_CNT: 0
	.section	.text._ZL33flash_attn_stream_k_fixup_uniformILi112ELi8ELi1EEvPfPK15HIP_vector_typeIfLj2EEiiiiiiS1_IjLj3EES5_S5_,"axG",@progbits,_ZL33flash_attn_stream_k_fixup_uniformILi112ELi8ELi1EEvPfPK15HIP_vector_typeIfLj2EEiiiiiiS1_IjLj3EES5_S5_,comdat
	.globl	_ZL33flash_attn_stream_k_fixup_uniformILi112ELi8ELi1EEvPfPK15HIP_vector_typeIfLj2EEiiiiiiS1_IjLj3EES5_S5_ ; -- Begin function _ZL33flash_attn_stream_k_fixup_uniformILi112ELi8ELi1EEvPfPK15HIP_vector_typeIfLj2EEiiiiiiS1_IjLj3EES5_S5_
	.p2align	8
	.type	_ZL33flash_attn_stream_k_fixup_uniformILi112ELi8ELi1EEvPfPK15HIP_vector_typeIfLj2EEiiiiiiS1_IjLj3EES5_S5_,@function
_ZL33flash_attn_stream_k_fixup_uniformILi112ELi8ELi1EEvPfPK15HIP_vector_typeIfLj2EEiiiiiiS1_IjLj3EES5_S5_: ; @_ZL33flash_attn_stream_k_fixup_uniformILi112ELi8ELi1EEvPfPK15HIP_vector_typeIfLj2EEiiiiiiS1_IjLj3EES5_S5_
; %bb.0:
	s_clause 0x2
	s_load_dwordx8 s[12:19], s[4:5], 0x1c
	s_load_dwordx4 s[20:23], s[4:5], 0x3c
	s_load_dwordx2 s[10:11], s[4:5], 0x10
	s_waitcnt lgkmcnt(0)
	s_mul_hi_u32 s0, s15, s6
	s_add_i32 s0, s6, s0
	s_lshr_b32 s0, s0, s16
	s_mul_i32 s1, s0, s17
	s_sub_i32 s1, s6, s1
	s_mul_hi_u32 s2, s1, s18
	s_add_i32 s2, s1, s2
	s_lshr_b32 s9, s2, s19
	s_mul_i32 s2, s9, s20
	s_sub_i32 s1, s1, s2
	;; [unrolled: 5-line block ×3, first 2 shown]
	s_lshl_b32 s1, s15, 3
	s_add_i32 s1, s1, s7
	s_cmp_lt_i32 s1, s10
	s_cselect_b32 s1, -1, 0
	s_add_i32 s16, s16, s8
	s_cmp_lt_i32 s16, s13
	s_cselect_b32 s2, -1, 0
	s_and_b32 s1, s1, s2
	s_andn2_b32 vcc_lo, exec_lo, s1
	s_cbranch_vccnz .LBB21_6
; %bb.1:
	s_mul_i32 s10, s0, s10
	s_load_dwordx4 s[0:3], s[4:5], 0x0
	s_add_i32 s4, s10, s7
	s_mul_i32 s9, s9, s13
	s_mul_i32 s4, s4, s11
	s_add_i32 s5, s16, s9
	s_mul_i32 s9, s11, s15
	s_add_i32 s4, s5, s4
	s_mulk_i32 s9, 0x380
	s_mulk_i32 s4, 0x70
	s_add_i32 s8, s7, s8
	v_add3_u32 v1, s4, s9, v0
	s_mul_i32 s4, s14, s6
	s_add_i32 s9, s4, s14
	v_ashrrev_i32_e32 v2, 31, v1
	v_lshlrev_b64 v[1:2], 2, v[1:2]
	s_waitcnt lgkmcnt(0)
	v_add_co_u32 v1, vcc_lo, s0, v1
	v_add_co_ci_u32_e64 v2, null, s1, v2, vcc_lo
	s_lshl_b32 s0, s9, 3
	s_add_i32 s0, s8, s0
	global_load_dword v5, v[1:2], off
	s_add_i32 s0, s0, -8
	s_ashr_i32 s1, s0, 31
	s_lshl_b64 s[0:1], s[0:1], 3
	s_add_u32 s0, s2, s0
	s_addc_u32 s1, s3, s1
	s_add_i32 s5, s9, -2
	s_load_dword s10, s[0:1], 0x4
	s_cmp_lt_i32 s5, s4
	s_cbranch_scc1 .LBB21_4
; %bb.2:
	s_load_dword s11, s[0:1], 0x0
	s_lshl_b32 s0, s12, 5
	s_waitcnt lgkmcnt(0)
	v_mov_b32_e32 v6, s10
	s_ashr_i32 s1, s0, 31
	s_lshl_b64 s[0:1], s[0:1], 2
	s_add_u32 s5, s2, s0
	s_addc_u32 s7, s3, s1
	s_add_i32 s6, s6, 1
	s_mul_i32 s1, s8, 0x70
	s_mul_i32 s0, s14, s6
	s_lshl_b32 s6, s0, 3
	s_mulk_i32 s0, 0x380
	s_add_i32 s6, s8, s6
	s_add_i32 s1, s1, s0
	s_lshl_b32 s0, s12, 3
	v_add3_u32 v3, s1, v0, 0xfffff900
	s_add_i32 s0, s6, s0
	v_mov_b32_e32 v0, s11
	s_add_i32 s6, s9, -1
	s_add_i32 s0, s0, -16
.LBB21_3:                               ; =>This Inner Loop Header: Depth=1
	v_ashrrev_i32_e32 v4, 31, v3
	s_ashr_i32 s1, s0, 31
	s_lshl_b64 s[8:9], s[0:1], 3
	s_add_u32 s8, s2, s8
	v_lshlrev_b64 v[7:8], 2, v[3:4]
	s_addc_u32 s9, s3, s9
	v_add_nc_u32_e32 v3, 0xfffffc80, v3
	s_add_i32 s6, s6, -1
	s_add_i32 s0, s0, -8
	s_cmp_le_i32 s6, s4
	v_add_co_u32 v7, vcc_lo, s5, v7
	v_add_co_ci_u32_e64 v8, null, s7, v8, vcc_lo
	s_load_dwordx2 s[8:9], s[8:9], 0x0
	global_load_dword v4, v[7:8], off
	v_max_f32_e32 v7, v0, v0
	s_waitcnt lgkmcnt(0)
	v_max_f32_e64 v8, s8, s8
	v_max_f32_e32 v7, v7, v8
	v_sub_f32_e32 v8, s8, v7
	v_sub_f32_e32 v0, v0, v7
	v_mul_f32_e32 v9, 0x3fb8aa3b, v8
	v_mul_f32_e32 v12, 0x3fb8aa3b, v0
	v_cmp_ngt_f32_e32 vcc_lo, 0xc2ce8ed0, v8
	v_fma_f32 v10, 0x3fb8aa3b, v8, -v9
	v_rndne_f32_e32 v11, v9
	v_fma_f32 v13, 0x3fb8aa3b, v0, -v12
	v_rndne_f32_e32 v14, v12
	v_fmac_f32_e32 v10, 0x32a5705f, v8
	v_sub_f32_e32 v9, v9, v11
	v_fmac_f32_e32 v13, 0x32a5705f, v0
	v_cvt_i32_f32_e32 v11, v11
	v_add_f32_e32 v9, v9, v10
	v_sub_f32_e32 v10, v12, v14
	v_exp_f32_e32 v9, v9
	v_add_f32_e32 v10, v10, v13
	v_exp_f32_e32 v10, v10
	v_ldexp_f32 v9, v9, v11
	v_cvt_i32_f32_e32 v11, v14
	v_cndmask_b32_e32 v9, 0, v9, vcc_lo
	v_cmp_nlt_f32_e32 vcc_lo, 0x42b17218, v8
	v_ldexp_f32 v10, v10, v11
	v_mov_b32_e32 v11, v6
	v_cndmask_b32_e32 v9, 0x7f800000, v9, vcc_lo
	v_cmp_ngt_f32_e32 vcc_lo, 0xc2ce8ed0, v0
	v_cndmask_b32_e32 v10, 0, v10, vcc_lo
	v_cmp_le_f32_e32 vcc_lo, 0xc1a00000, v8
	v_cndmask_b32_e32 v8, 0, v9, vcc_lo
	v_cmp_nlt_f32_e32 vcc_lo, 0x42b17218, v0
	s_waitcnt vmcnt(1)
	v_mov_b32_e32 v9, v5
	v_cndmask_b32_e32 v5, 0x7f800000, v10, vcc_lo
	v_mul_f32_e32 v10, s9, v8
	v_cmp_le_f32_e32 vcc_lo, 0xc1a00000, v0
	v_mov_b32_e32 v0, v7
	v_mov_b32_e32 v6, v10
	v_cndmask_b32_e32 v12, 0, v5, vcc_lo
	v_fmac_f32_e32 v6, v11, v12
	s_waitcnt vmcnt(0)
	v_mul_f32_e32 v5, v4, v8
	v_fmac_f32_e32 v5, v9, v12
	s_cbranch_scc0 .LBB21_3
	s_branch .LBB21_5
.LBB21_4:
	s_waitcnt lgkmcnt(0)
	v_mov_b32_e32 v6, s10
.LBB21_5:
	s_waitcnt vmcnt(0)
	v_div_scale_f32 v0, null, v6, v6, v5
	v_rcp_f32_e32 v3, v0
	v_fma_f32 v4, -v0, v3, 1.0
	v_fmac_f32_e32 v3, v4, v3
	v_div_scale_f32 v4, vcc_lo, v5, v6, v5
	v_mul_f32_e32 v7, v4, v3
	v_fma_f32 v8, -v0, v7, v4
	v_fmac_f32_e32 v7, v8, v3
	v_fma_f32 v0, -v0, v7, v4
	v_div_fmas_f32 v0, v0, v3, v7
	v_div_fixup_f32 v0, v0, v6, v5
	global_store_dword v[1:2], v0, off
.LBB21_6:
	s_endpgm
	.section	.rodata,"a",@progbits
	.p2align	6, 0x0
	.amdhsa_kernel _ZL33flash_attn_stream_k_fixup_uniformILi112ELi8ELi1EEvPfPK15HIP_vector_typeIfLj2EEiiiiiiS1_IjLj3EES5_S5_
		.amdhsa_group_segment_fixed_size 0
		.amdhsa_private_segment_fixed_size 0
		.amdhsa_kernarg_size 76
		.amdhsa_user_sgpr_count 6
		.amdhsa_user_sgpr_private_segment_buffer 1
		.amdhsa_user_sgpr_dispatch_ptr 0
		.amdhsa_user_sgpr_queue_ptr 0
		.amdhsa_user_sgpr_kernarg_segment_ptr 1
		.amdhsa_user_sgpr_dispatch_id 0
		.amdhsa_user_sgpr_flat_scratch_init 0
		.amdhsa_user_sgpr_private_segment_size 0
		.amdhsa_wavefront_size32 1
		.amdhsa_uses_dynamic_stack 0
		.amdhsa_system_sgpr_private_segment_wavefront_offset 0
		.amdhsa_system_sgpr_workgroup_id_x 1
		.amdhsa_system_sgpr_workgroup_id_y 1
		.amdhsa_system_sgpr_workgroup_id_z 1
		.amdhsa_system_sgpr_workgroup_info 0
		.amdhsa_system_vgpr_workitem_id 0
		.amdhsa_next_free_vgpr 15
		.amdhsa_next_free_sgpr 24
		.amdhsa_reserve_vcc 1
		.amdhsa_reserve_flat_scratch 0
		.amdhsa_float_round_mode_32 0
		.amdhsa_float_round_mode_16_64 0
		.amdhsa_float_denorm_mode_32 3
		.amdhsa_float_denorm_mode_16_64 3
		.amdhsa_dx10_clamp 1
		.amdhsa_ieee_mode 1
		.amdhsa_fp16_overflow 0
		.amdhsa_workgroup_processor_mode 1
		.amdhsa_memory_ordered 1
		.amdhsa_forward_progress 1
		.amdhsa_shared_vgpr_count 0
		.amdhsa_exception_fp_ieee_invalid_op 0
		.amdhsa_exception_fp_denorm_src 0
		.amdhsa_exception_fp_ieee_div_zero 0
		.amdhsa_exception_fp_ieee_overflow 0
		.amdhsa_exception_fp_ieee_underflow 0
		.amdhsa_exception_fp_ieee_inexact 0
		.amdhsa_exception_int_div_zero 0
	.end_amdhsa_kernel
	.section	.text._ZL33flash_attn_stream_k_fixup_uniformILi112ELi8ELi1EEvPfPK15HIP_vector_typeIfLj2EEiiiiiiS1_IjLj3EES5_S5_,"axG",@progbits,_ZL33flash_attn_stream_k_fixup_uniformILi112ELi8ELi1EEvPfPK15HIP_vector_typeIfLj2EEiiiiiiS1_IjLj3EES5_S5_,comdat
.Lfunc_end21:
	.size	_ZL33flash_attn_stream_k_fixup_uniformILi112ELi8ELi1EEvPfPK15HIP_vector_typeIfLj2EEiiiiiiS1_IjLj3EES5_S5_, .Lfunc_end21-_ZL33flash_attn_stream_k_fixup_uniformILi112ELi8ELi1EEvPfPK15HIP_vector_typeIfLj2EEiiiiiiS1_IjLj3EES5_S5_
                                        ; -- End function
	.set _ZL33flash_attn_stream_k_fixup_uniformILi112ELi8ELi1EEvPfPK15HIP_vector_typeIfLj2EEiiiiiiS1_IjLj3EES5_S5_.num_vgpr, 15
	.set _ZL33flash_attn_stream_k_fixup_uniformILi112ELi8ELi1EEvPfPK15HIP_vector_typeIfLj2EEiiiiiiS1_IjLj3EES5_S5_.num_agpr, 0
	.set _ZL33flash_attn_stream_k_fixup_uniformILi112ELi8ELi1EEvPfPK15HIP_vector_typeIfLj2EEiiiiiiS1_IjLj3EES5_S5_.numbered_sgpr, 24
	.set _ZL33flash_attn_stream_k_fixup_uniformILi112ELi8ELi1EEvPfPK15HIP_vector_typeIfLj2EEiiiiiiS1_IjLj3EES5_S5_.num_named_barrier, 0
	.set _ZL33flash_attn_stream_k_fixup_uniformILi112ELi8ELi1EEvPfPK15HIP_vector_typeIfLj2EEiiiiiiS1_IjLj3EES5_S5_.private_seg_size, 0
	.set _ZL33flash_attn_stream_k_fixup_uniformILi112ELi8ELi1EEvPfPK15HIP_vector_typeIfLj2EEiiiiiiS1_IjLj3EES5_S5_.uses_vcc, 1
	.set _ZL33flash_attn_stream_k_fixup_uniformILi112ELi8ELi1EEvPfPK15HIP_vector_typeIfLj2EEiiiiiiS1_IjLj3EES5_S5_.uses_flat_scratch, 0
	.set _ZL33flash_attn_stream_k_fixup_uniformILi112ELi8ELi1EEvPfPK15HIP_vector_typeIfLj2EEiiiiiiS1_IjLj3EES5_S5_.has_dyn_sized_stack, 0
	.set _ZL33flash_attn_stream_k_fixup_uniformILi112ELi8ELi1EEvPfPK15HIP_vector_typeIfLj2EEiiiiiiS1_IjLj3EES5_S5_.has_recursion, 0
	.set _ZL33flash_attn_stream_k_fixup_uniformILi112ELi8ELi1EEvPfPK15HIP_vector_typeIfLj2EEiiiiiiS1_IjLj3EES5_S5_.has_indirect_call, 0
	.section	.AMDGPU.csdata,"",@progbits
; Kernel info:
; codeLenInByte = 828
; TotalNumSgprs: 26
; NumVgprs: 15
; ScratchSize: 0
; MemoryBound: 0
; FloatMode: 240
; IeeeMode: 1
; LDSByteSize: 0 bytes/workgroup (compile time only)
; SGPRBlocks: 0
; VGPRBlocks: 1
; NumSGPRsForWavesPerEU: 26
; NumVGPRsForWavesPerEU: 15
; Occupancy: 16
; WaveLimiterHint : 0
; COMPUTE_PGM_RSRC2:SCRATCH_EN: 0
; COMPUTE_PGM_RSRC2:USER_SGPR: 6
; COMPUTE_PGM_RSRC2:TRAP_HANDLER: 0
; COMPUTE_PGM_RSRC2:TGID_X_EN: 1
; COMPUTE_PGM_RSRC2:TGID_Y_EN: 1
; COMPUTE_PGM_RSRC2:TGID_Z_EN: 1
; COMPUTE_PGM_RSRC2:TIDIG_COMP_CNT: 0
	.section	.text._ZL33flash_attn_stream_k_fixup_generalILi112ELi8ELi1EEvPfPK15HIP_vector_typeIfLj2EEiiiiS1_IjLj3EES5_S5_S5_,"axG",@progbits,_ZL33flash_attn_stream_k_fixup_generalILi112ELi8ELi1EEvPfPK15HIP_vector_typeIfLj2EEiiiiS1_IjLj3EES5_S5_S5_,comdat
	.globl	_ZL33flash_attn_stream_k_fixup_generalILi112ELi8ELi1EEvPfPK15HIP_vector_typeIfLj2EEiiiiS1_IjLj3EES5_S5_S5_ ; -- Begin function _ZL33flash_attn_stream_k_fixup_generalILi112ELi8ELi1EEvPfPK15HIP_vector_typeIfLj2EEiiiiS1_IjLj3EES5_S5_S5_
	.p2align	8
	.type	_ZL33flash_attn_stream_k_fixup_generalILi112ELi8ELi1EEvPfPK15HIP_vector_typeIfLj2EEiiiiS1_IjLj3EES5_S5_S5_,@function
_ZL33flash_attn_stream_k_fixup_generalILi112ELi8ELi1EEvPfPK15HIP_vector_typeIfLj2EEiiiiS1_IjLj3EES5_S5_S5_: ; @_ZL33flash_attn_stream_k_fixup_generalILi112ELi8ELi1EEvPfPK15HIP_vector_typeIfLj2EEiiiiS1_IjLj3EES5_S5_S5_
; %bb.0:
	s_clause 0x1
	s_load_dwordx4 s[0:3], s[4:5], 0x10
	s_load_dword s9, s[4:5], 0x50
	s_mov_b32 s16, 0
	s_waitcnt lgkmcnt(0)
	s_mul_hi_i32 s17, s3, s6
	s_mul_i32 s18, s3, s6
	s_cmp_lg_u64 s[16:17], 0
	s_cbranch_scc0 .LBB22_21
; %bb.1:
	s_add_u32 s10, s9, 0
	s_addc_u32 s11, 0, 0
	s_xor_b64 s[10:11], s[10:11], 0
	v_cvt_f32_u32_e32 v1, s10
	v_cvt_f32_u32_e32 v2, s11
	s_sub_u32 s14, 0, s10
	s_subb_u32 s15, 0, s11
	v_fmamk_f32 v1, v2, 0x4f800000, v1
	v_rcp_f32_e32 v1, v1
	v_mul_f32_e32 v1, 0x5f7ffffc, v1
	v_mul_f32_e32 v2, 0x2f800000, v1
	v_trunc_f32_e32 v2, v2
	v_fmamk_f32 v1, v2, 0xcf800000, v1
	v_cvt_u32_f32_e32 v2, v2
	v_cvt_u32_f32_e32 v1, v1
	v_readfirstlane_b32 s12, v2
	v_readfirstlane_b32 s13, v1
	s_mul_i32 s19, s14, s12
	s_mul_hi_u32 s21, s14, s13
	s_mul_i32 s20, s15, s13
	s_add_i32 s19, s21, s19
	s_mul_i32 s22, s14, s13
	s_add_i32 s19, s19, s20
	s_mul_hi_u32 s21, s13, s22
	s_mul_i32 s24, s13, s19
	s_mul_hi_u32 s23, s12, s22
	s_mul_i32 s20, s12, s22
	s_mul_hi_u32 s22, s13, s19
	s_add_u32 s21, s21, s24
	s_addc_u32 s22, 0, s22
	s_mul_hi_u32 s25, s12, s19
	s_add_u32 s20, s21, s20
	s_mul_i32 s19, s12, s19
	s_addc_u32 s20, s22, s23
	s_addc_u32 s21, s25, 0
	s_add_u32 s19, s20, s19
	s_addc_u32 s20, 0, s21
	s_add_u32 s13, s13, s19
	s_cselect_b32 s19, -1, 0
	s_mul_hi_u32 s21, s14, s13
	s_cmp_lg_u32 s19, 0
	s_mul_i32 s19, s14, s13
	s_addc_u32 s12, s12, s20
	s_mul_i32 s15, s15, s13
	s_mul_i32 s14, s14, s12
	s_mul_hi_u32 s20, s13, s19
	s_add_i32 s14, s21, s14
	s_mul_hi_u32 s21, s12, s19
	s_add_i32 s14, s14, s15
	s_mul_i32 s15, s12, s19
	s_mul_i32 s23, s13, s14
	s_mul_hi_u32 s22, s13, s14
	s_add_u32 s20, s20, s23
	s_addc_u32 s22, 0, s22
	s_mul_hi_u32 s19, s12, s14
	s_add_u32 s15, s20, s15
	s_mul_i32 s14, s12, s14
	s_addc_u32 s15, s22, s21
	s_addc_u32 s19, s19, 0
	s_add_u32 s14, s15, s14
	s_addc_u32 s15, 0, s19
	s_add_u32 s19, s13, s14
	s_cselect_b32 s13, -1, 0
	s_cmp_lg_u32 s13, 0
	s_addc_u32 s20, s12, s15
	s_ashr_i32 s12, s17, 31
	s_add_u32 s14, s18, s12
	s_mov_b32 s13, s12
	s_addc_u32 s15, s17, s12
	s_xor_b64 s[14:15], s[14:15], s[12:13]
	s_mul_i32 s21, s14, s20
	s_mul_hi_u32 s22, s14, s19
	s_mul_hi_u32 s17, s14, s20
	;; [unrolled: 1-line block ×3, first 2 shown]
	s_mul_i32 s19, s15, s19
	s_add_u32 s21, s22, s21
	s_addc_u32 s17, 0, s17
	s_mul_hi_u32 s23, s15, s20
	s_add_u32 s19, s21, s19
	s_mul_i32 s20, s15, s20
	s_addc_u32 s17, s17, s24
	s_addc_u32 s19, s23, 0
	s_add_u32 s17, s17, s20
	s_addc_u32 s19, 0, s19
	s_mul_hi_u32 s20, s10, s17
	s_mul_i32 s21, s10, s19
	s_mul_i32 s22, s11, s17
	s_add_i32 s20, s20, s21
	s_mul_i32 s21, s10, s17
	s_add_i32 s20, s20, s22
	s_sub_i32 s22, s15, s20
	s_sub_u32 s14, s14, s21
	s_cselect_b32 s21, -1, 0
	s_cmp_lg_u32 s21, 0
	s_subb_u32 s22, s22, s11
	s_sub_u32 s23, s14, s10
	s_cselect_b32 s24, -1, 0
	s_cmp_lg_u32 s24, 0
	s_subb_u32 s22, s22, 0
	s_cmp_ge_u32 s22, s11
	s_cselect_b32 s24, -1, 0
	s_cmp_ge_u32 s23, s10
	s_cselect_b32 s23, -1, 0
	s_cmp_eq_u32 s22, s11
	s_cselect_b32 s22, s23, s24
	s_add_u32 s23, s17, 1
	s_addc_u32 s24, s19, 0
	s_add_u32 s25, s17, 2
	s_addc_u32 s26, s19, 0
	s_cmp_lg_u32 s22, 0
	s_cselect_b32 s22, s25, s23
	s_cselect_b32 s23, s26, s24
	s_cmp_lg_u32 s21, 0
	s_subb_u32 s15, s15, s20
	s_cmp_ge_u32 s15, s11
	s_cselect_b32 s20, -1, 0
	s_cmp_ge_u32 s14, s10
	s_cselect_b32 s10, -1, 0
	s_cmp_eq_u32 s15, s11
	s_cselect_b32 s10, s10, s20
	s_cmp_lg_u32 s10, 0
	s_cselect_b32 s11, s23, s19
	s_cselect_b32 s10, s22, s17
	s_xor_b64 s[12:13], s[12:13], 0
	s_xor_b64 s[10:11], s[10:11], s[12:13]
	s_sub_u32 s10, s10, s12
	s_load_dwordx4 s[12:15], s[4:5], 0x44
	s_andn2_b32 vcc_lo, exec_lo, s16
	s_cbranch_vccnz .LBB22_3
.LBB22_2:
	v_cvt_f32_u32_e32 v1, s9
	s_sub_i32 s11, 0, s9
	v_rcp_iflag_f32_e32 v1, v1
	v_mul_f32_e32 v1, 0x4f7ffffe, v1
	v_cvt_u32_f32_e32 v1, v1
	v_readfirstlane_b32 s10, v1
	s_mul_i32 s11, s11, s10
	s_mul_hi_u32 s11, s10, s11
	s_add_i32 s10, s10, s11
	s_mul_hi_u32 s10, s18, s10
	s_mul_i32 s11, s10, s9
	s_waitcnt lgkmcnt(0)
	s_add_i32 s15, s10, 1
	s_sub_i32 s11, s18, s11
	s_sub_i32 s16, s11, s9
	s_cmp_ge_u32 s11, s9
	s_cselect_b32 s10, s15, s10
	s_cselect_b32 s11, s16, s11
	s_add_i32 s15, s10, 1
	s_cmp_ge_u32 s11, s9
	s_cselect_b32 s10, s15, s10
.LBB22_3:
	s_add_i32 s11, s6, 1
	s_mov_b32 s16, 0
	s_mul_hi_i32 s17, s3, s11
	s_mul_i32 s11, s3, s11
	s_cmp_lg_u64 s[16:17], 0
	s_cbranch_scc0 .LBB22_22
; %bb.4:
	s_add_u32 s18, s9, 0
	s_addc_u32 s19, 0, 0
	s_xor_b64 s[18:19], s[18:19], 0
	v_cvt_f32_u32_e32 v1, s18
	v_cvt_f32_u32_e32 v2, s19
	s_sub_u32 s21, 0, s18
	s_subb_u32 s22, 0, s19
	v_fmamk_f32 v1, v2, 0x4f800000, v1
	v_rcp_f32_e32 v1, v1
	v_mul_f32_e32 v1, 0x5f7ffffc, v1
	v_mul_f32_e32 v2, 0x2f800000, v1
	v_trunc_f32_e32 v2, v2
	v_fmamk_f32 v1, v2, 0xcf800000, v1
	v_cvt_u32_f32_e32 v2, v2
	v_cvt_u32_f32_e32 v1, v1
	s_waitcnt lgkmcnt(0)
	v_readfirstlane_b32 s15, v2
	v_readfirstlane_b32 s20, v1
	s_mul_i32 s23, s21, s15
	s_mul_hi_u32 s25, s21, s20
	s_mul_i32 s24, s22, s20
	s_add_i32 s23, s25, s23
	s_mul_i32 s26, s21, s20
	s_add_i32 s23, s23, s24
	s_mul_hi_u32 s25, s20, s26
	s_mul_i32 s28, s20, s23
	s_mul_hi_u32 s27, s15, s26
	s_mul_i32 s24, s15, s26
	s_mul_hi_u32 s26, s20, s23
	s_add_u32 s25, s25, s28
	s_addc_u32 s26, 0, s26
	s_mul_hi_u32 s29, s15, s23
	s_add_u32 s24, s25, s24
	s_mul_i32 s23, s15, s23
	s_addc_u32 s24, s26, s27
	s_addc_u32 s25, s29, 0
	s_add_u32 s23, s24, s23
	s_addc_u32 s24, 0, s25
	s_add_u32 s20, s20, s23
	s_cselect_b32 s23, -1, 0
	s_mul_hi_u32 s25, s21, s20
	s_cmp_lg_u32 s23, 0
	s_mul_i32 s23, s21, s20
	s_addc_u32 s15, s15, s24
	s_mul_i32 s22, s22, s20
	s_mul_i32 s21, s21, s15
	s_mul_hi_u32 s24, s20, s23
	s_add_i32 s21, s25, s21
	s_mul_hi_u32 s25, s15, s23
	s_add_i32 s21, s21, s22
	s_mul_i32 s22, s15, s23
	s_mul_i32 s27, s20, s21
	s_mul_hi_u32 s26, s20, s21
	s_add_u32 s24, s24, s27
	s_addc_u32 s26, 0, s26
	s_mul_hi_u32 s23, s15, s21
	s_add_u32 s22, s24, s22
	s_mul_i32 s21, s15, s21
	s_addc_u32 s22, s26, s25
	s_addc_u32 s23, s23, 0
	s_add_u32 s21, s22, s21
	s_addc_u32 s22, 0, s23
	s_add_u32 s24, s20, s21
	s_cselect_b32 s20, -1, 0
	s_cmp_lg_u32 s20, 0
	s_addc_u32 s15, s15, s22
	s_ashr_i32 s20, s17, 31
	s_add_u32 s22, s11, s20
	s_mov_b32 s21, s20
	s_addc_u32 s23, s17, s20
	s_xor_b64 s[22:23], s[22:23], s[20:21]
	s_mul_i32 s25, s22, s15
	s_mul_hi_u32 s26, s22, s24
	s_mul_hi_u32 s17, s22, s15
	;; [unrolled: 1-line block ×3, first 2 shown]
	s_mul_i32 s24, s23, s24
	s_add_u32 s25, s26, s25
	s_addc_u32 s17, 0, s17
	s_mul_hi_u32 s27, s23, s15
	s_add_u32 s24, s25, s24
	s_mul_i32 s15, s23, s15
	s_addc_u32 s17, s17, s28
	s_addc_u32 s24, s27, 0
	s_add_u32 s15, s17, s15
	s_addc_u32 s17, 0, s24
	s_mul_hi_u32 s24, s18, s15
	s_mul_i32 s25, s18, s17
	s_mul_i32 s26, s19, s15
	s_add_i32 s24, s24, s25
	s_mul_i32 s25, s18, s15
	s_add_i32 s24, s24, s26
	s_sub_i32 s26, s23, s24
	s_sub_u32 s22, s22, s25
	s_cselect_b32 s25, -1, 0
	s_cmp_lg_u32 s25, 0
	s_subb_u32 s26, s26, s19
	s_sub_u32 s27, s22, s18
	s_cselect_b32 s28, -1, 0
	s_cmp_lg_u32 s28, 0
	s_subb_u32 s26, s26, 0
	s_cmp_ge_u32 s26, s19
	s_cselect_b32 s28, -1, 0
	s_cmp_ge_u32 s27, s18
	s_cselect_b32 s27, -1, 0
	s_cmp_eq_u32 s26, s19
	s_cselect_b32 s26, s27, s28
	s_add_u32 s27, s15, 1
	s_addc_u32 s28, s17, 0
	s_add_u32 s29, s15, 2
	s_addc_u32 s30, s17, 0
	s_cmp_lg_u32 s26, 0
	s_cselect_b32 s26, s29, s27
	s_cselect_b32 s27, s30, s28
	s_cmp_lg_u32 s25, 0
	s_subb_u32 s23, s23, s24
	s_cmp_ge_u32 s23, s19
	s_cselect_b32 s24, -1, 0
	s_cmp_ge_u32 s22, s18
	s_cselect_b32 s18, -1, 0
	s_cmp_eq_u32 s23, s19
	s_cselect_b32 s18, s18, s24
	s_cmp_lg_u32 s18, 0
	s_cselect_b32 s19, s27, s17
	s_cselect_b32 s18, s26, s15
	s_xor_b64 s[20:21], s[20:21], 0
	s_xor_b64 s[18:19], s[18:19], s[20:21]
	s_sub_u32 s18, s18, s20
	s_andn2_b32 vcc_lo, exec_lo, s16
	s_cbranch_vccnz .LBB22_6
.LBB22_5:
	v_cvt_f32_u32_e32 v1, s9
	s_sub_i32 s16, 0, s9
	v_rcp_iflag_f32_e32 v1, v1
	v_mul_f32_e32 v1, 0x4f7ffffe, v1
	v_cvt_u32_f32_e32 v1, v1
	s_waitcnt lgkmcnt(0)
	v_readfirstlane_b32 s15, v1
	s_mul_i32 s16, s16, s15
	s_mul_hi_u32 s16, s15, s16
	s_add_i32 s15, s15, s16
	s_mul_hi_u32 s15, s11, s15
	s_mul_i32 s16, s15, s9
	s_sub_i32 s11, s11, s16
	s_add_i32 s16, s15, 1
	s_sub_i32 s17, s11, s9
	s_cmp_ge_u32 s11, s9
	s_cselect_b32 s15, s16, s15
	s_cselect_b32 s11, s17, s11
	s_add_i32 s16, s15, 1
	s_cmp_ge_u32 s11, s9
	s_cselect_b32 s18, s16, s15
.LBB22_6:
	s_cmp_eq_u32 s10, s18
	s_waitcnt lgkmcnt(0)
	s_mul_hi_u32 s11, s10, s12
	s_cselect_b32 s15, -1, 0
	s_add_i32 s11, s11, s10
	s_lshr_b32 s11, s11, s13
	s_mul_i32 s16, s11, s14
	s_cmp_eq_u32 s16, s10
	s_mul_hi_u32 s16, s18, s12
	s_cselect_b32 s17, -1, 0
	s_add_i32 s16, s16, s18
	s_lshr_b32 s16, s16, s13
	s_cmp_eq_u32 s11, s16
	s_mul_i32 s16, s16, s14
	s_cselect_b32 s19, -1, 0
	s_cmp_lg_u32 s16, s18
	s_cselect_b32 s16, -1, 0
	s_or_b32 s15, s15, s17
	s_and_b32 s16, s19, s16
	s_or_b32 s15, s15, s16
	s_and_b32 vcc_lo, exec_lo, s15
	s_cbranch_vccnz .LBB22_24
; %bb.7:
	s_clause 0x1
	s_load_dwordx8 s[20:27], s[4:5], 0x20
	s_load_dword s16, s[4:5], 0x40
	s_waitcnt lgkmcnt(0)
	s_mul_hi_u32 s15, s10, s20
	s_add_i32 s15, s15, s10
	s_lshr_b32 s15, s15, s21
	s_mul_i32 s17, s15, s22
	s_sub_i32 s17, s10, s17
	s_mul_hi_u32 s18, s17, s23
	s_add_i32 s18, s17, s18
	s_lshr_b32 s21, s18, s24
	s_mul_i32 s18, s21, s25
	s_sub_i32 s17, s17, s18
	;; [unrolled: 5-line block ×3, first 2 shown]
	s_mul_hi_u32 s17, s16, s12
	s_add_i32 s16, s16, s17
	s_lshr_b32 s20, s16, s13
	s_lshl_b32 s16, s20, 3
	s_add_i32 s16, s16, s7
	s_cmp_lt_i32 s16, s0
	s_cselect_b32 s16, -1, 0
	s_add_i32 s22, s22, s8
	s_cmp_lt_i32 s22, s2
	s_cselect_b32 s17, -1, 0
	s_and_b32 s16, s16, s17
	s_andn2_b32 vcc_lo, exec_lo, s16
	s_cbranch_vccnz .LBB22_24
; %bb.8:
	s_load_dwordx4 s[16:19], s[4:5], 0x0
	s_mov_b32 s4, 0
	s_lshl_b32 s24, s9, 5
	s_mov_b32 s25, s4
	s_add_i32 s8, s7, s8
	s_lshl_b64 s[24:25], s[24:25], 2
	s_mul_i32 s0, s15, s0
	s_mul_i32 s21, s21, s2
	v_cvt_f32_u32_e32 v3, s9
	v_rcp_iflag_f32_e32 v3, v3
	s_waitcnt lgkmcnt(0)
	s_add_u32 s2, s18, s24
	s_addc_u32 s15, s19, s25
	s_add_i32 s0, s0, s7
	s_add_i32 s5, s22, s21
	s_mul_i32 s0, s0, s1
	s_mul_i32 s1, s1, s20
	s_add_i32 s0, s5, s0
	s_mulk_i32 s1, 0x380
	s_mulk_i32 s0, 0x70
	v_mul_f32_e32 v7, 0x4f7ffffe, v3
	v_add3_u32 v1, s1, s0, v0
	s_lshl_b32 s0, s6, 3
	s_add_i32 s0, s0, s8
	v_ashrrev_i32_e32 v2, 31, v1
	s_ashr_i32 s1, s0, 31
	s_lshl_b64 s[0:1], s[0:1], 3
	v_lshlrev_b64 v[1:2], 2, v[1:2]
	s_add_u32 s0, s18, s0
	s_addc_u32 s1, s19, s1
	s_load_dwordx2 s[0:1], s[0:1], 0x0
	v_add_co_u32 v1, vcc_lo, s16, v1
	v_add_co_ci_u32_e64 v2, null, s17, v2, vcc_lo
	s_add_i32 s17, s6, -1
	v_mad_u64_u32 v[3:4], null, 0x70, s8, v[0:1]
	global_load_dword v5, v[1:2], off
	v_cvt_u32_f32_e32 v0, v7
	s_sub_i32 s16, 0, s9
	s_waitcnt lgkmcnt(0)
	v_mov_b32_e32 v4, s1
	v_mov_b32_e32 v6, s0
.LBB22_9:                               ; =>This Inner Loop Header: Depth=1
	s_mul_hi_i32 s5, s17, s3
	s_mul_i32 s6, s17, s3
	s_cmp_lg_u64 s[4:5], 0
	s_mov_b32 s7, -1
                                        ; implicit-def: $sgpr0_sgpr1
	s_cbranch_scc0 .LBB22_11
; %bb.10:                               ;   in Loop: Header=BB22_9 Depth=1
	s_add_u32 s0, s9, 0
	s_addc_u32 s1, 0, 0
	s_xor_b64 s[0:1], s[0:1], 0
	v_cvt_f32_u32_e32 v7, s0
	v_cvt_f32_u32_e32 v8, s1
	s_sub_u32 s21, 0, s0
	s_subb_u32 s22, 0, s1
	v_fmac_f32_e32 v7, 0x4f800000, v8
	v_rcp_f32_e32 v7, v7
	v_mul_f32_e32 v7, 0x5f7ffffc, v7
	v_mul_f32_e32 v8, 0x2f800000, v7
	v_trunc_f32_e32 v8, v8
	v_fmac_f32_e32 v7, 0xcf800000, v8
	v_cvt_u32_f32_e32 v8, v8
	v_cvt_u32_f32_e32 v7, v7
	v_readfirstlane_b32 s7, v8
	v_readfirstlane_b32 s20, v7
	s_mul_i32 s23, s21, s7
	s_mul_hi_u32 s25, s21, s20
	s_mul_i32 s24, s22, s20
	s_add_i32 s23, s25, s23
	s_mul_i32 s26, s21, s20
	s_add_i32 s23, s23, s24
	s_mul_hi_u32 s25, s20, s26
	s_mul_i32 s28, s20, s23
	s_mul_hi_u32 s27, s7, s26
	s_mul_i32 s24, s7, s26
	s_mul_hi_u32 s26, s20, s23
	s_add_u32 s25, s25, s28
	s_addc_u32 s26, 0, s26
	s_mul_hi_u32 s29, s7, s23
	s_add_u32 s24, s25, s24
	s_mul_i32 s23, s7, s23
	s_addc_u32 s24, s26, s27
	s_addc_u32 s25, s29, 0
	s_add_u32 s23, s24, s23
	s_addc_u32 s24, 0, s25
	s_add_u32 s20, s20, s23
	s_cselect_b32 s23, -1, 0
	s_mul_hi_u32 s25, s21, s20
	s_cmp_lg_u32 s23, 0
	s_mul_i32 s23, s21, s20
	s_addc_u32 s7, s7, s24
	s_mul_i32 s22, s22, s20
	s_mul_i32 s21, s21, s7
	s_mul_hi_u32 s24, s20, s23
	s_add_i32 s21, s25, s21
	s_mul_hi_u32 s25, s7, s23
	s_add_i32 s21, s21, s22
	s_mul_i32 s22, s7, s23
	s_mul_i32 s27, s20, s21
	s_mul_hi_u32 s26, s20, s21
	s_add_u32 s24, s24, s27
	s_addc_u32 s26, 0, s26
	s_mul_hi_u32 s23, s7, s21
	s_add_u32 s22, s24, s22
	s_mul_i32 s21, s7, s21
	s_addc_u32 s22, s26, s25
	s_addc_u32 s23, s23, 0
	s_add_u32 s21, s22, s21
	s_addc_u32 s22, 0, s23
	s_add_u32 s24, s20, s21
	s_cselect_b32 s20, -1, 0
	s_cmp_lg_u32 s20, 0
	s_addc_u32 s7, s7, s22
	s_ashr_i32 s20, s5, 31
	s_add_u32 s22, s6, s20
	s_mov_b32 s21, s20
	s_addc_u32 s23, s5, s20
	s_xor_b64 s[22:23], s[22:23], s[20:21]
	s_mul_i32 s25, s22, s7
	s_mul_hi_u32 s26, s22, s24
	s_mul_hi_u32 s5, s22, s7
	;; [unrolled: 1-line block ×3, first 2 shown]
	s_mul_i32 s24, s23, s24
	s_add_u32 s25, s26, s25
	s_addc_u32 s5, 0, s5
	s_mul_hi_u32 s27, s23, s7
	s_add_u32 s24, s25, s24
	s_mul_i32 s7, s23, s7
	s_addc_u32 s5, s5, s28
	s_addc_u32 s24, s27, 0
	s_add_u32 s5, s5, s7
	s_addc_u32 s7, 0, s24
	s_mul_hi_u32 s24, s0, s5
	s_mul_i32 s25, s0, s7
	s_mul_i32 s26, s1, s5
	s_add_i32 s24, s24, s25
	s_mul_i32 s25, s0, s5
	s_add_i32 s24, s24, s26
	s_sub_i32 s26, s23, s24
	s_sub_u32 s22, s22, s25
	s_cselect_b32 s25, -1, 0
	s_cmp_lg_u32 s25, 0
	s_subb_u32 s26, s26, s1
	s_sub_u32 s27, s22, s0
	s_cselect_b32 s28, -1, 0
	s_cmp_lg_u32 s28, 0
	s_subb_u32 s26, s26, 0
	s_cmp_ge_u32 s26, s1
	s_cselect_b32 s28, -1, 0
	s_cmp_ge_u32 s27, s0
	s_cselect_b32 s27, -1, 0
	s_cmp_eq_u32 s26, s1
	s_cselect_b32 s26, s27, s28
	s_add_u32 s27, s5, 1
	s_addc_u32 s28, s7, 0
	s_add_u32 s29, s5, 2
	s_addc_u32 s30, s7, 0
	s_cmp_lg_u32 s26, 0
	s_cselect_b32 s26, s29, s27
	s_cselect_b32 s27, s30, s28
	s_cmp_lg_u32 s25, 0
	s_subb_u32 s23, s23, s24
	s_cmp_ge_u32 s23, s1
	s_cselect_b32 s24, -1, 0
	s_cmp_ge_u32 s22, s0
	s_cselect_b32 s0, -1, 0
	s_cmp_eq_u32 s23, s1
	s_cselect_b32 s0, s0, s24
	s_cmp_lg_u32 s0, 0
	s_cselect_b32 s1, s27, s7
	s_cselect_b32 s0, s26, s5
	s_xor_b64 s[20:21], s[20:21], 0
	s_mov_b32 s7, 0
	s_xor_b64 s[0:1], s[0:1], s[20:21]
	s_sub_u32 s0, s0, s20
.LBB22_11:                              ;   in Loop: Header=BB22_9 Depth=1
	s_andn2_b32 vcc_lo, exec_lo, s7
	s_cbranch_vccnz .LBB22_13
; %bb.12:                               ;   in Loop: Header=BB22_9 Depth=1
	v_readfirstlane_b32 s0, v0
	s_mul_i32 s1, s16, s0
	s_mul_hi_u32 s1, s0, s1
	s_add_i32 s0, s0, s1
	s_mul_hi_u32 s0, s6, s0
	s_mul_i32 s1, s0, s9
	s_add_i32 s5, s0, 1
	s_sub_i32 s1, s6, s1
	s_sub_i32 s6, s1, s9
	s_cmp_ge_u32 s1, s9
	s_cselect_b32 s0, s5, s0
	s_cselect_b32 s1, s6, s1
	s_add_i32 s5, s0, 1
	s_cmp_ge_u32 s1, s9
	s_cselect_b32 s0, s5, s0
.LBB22_13:                              ;   in Loop: Header=BB22_9 Depth=1
	s_cmp_lg_u32 s10, s0
	s_mov_b32 s6, -1
                                        ; implicit-def: $sgpr5
                                        ; implicit-def: $vgpr8
                                        ; implicit-def: $vgpr7
                                        ; implicit-def: $vgpr9
                                        ; implicit-def: $sgpr1
                                        ; implicit-def: $sgpr20
	s_cbranch_scc0 .LBB22_18
; %bb.14:                               ;   in Loop: Header=BB22_9 Depth=1
	s_add_i32 s1, s17, s9
	s_mov_b32 s7, s4
	s_lshl_b32 s1, s1, 3
	s_mov_b32 s20, s10
	s_add_i32 s6, s1, s8
	s_mul_hi_u32 s1, s0, s12
	s_lshl_b64 s[6:7], s[6:7], 3
	s_add_u32 s6, s18, s6
	s_addc_u32 s7, s19, s7
	s_add_i32 s1, s1, s0
	s_lshr_b32 s1, s1, s13
	s_mul_i32 s5, s1, s14
	s_cmp_eq_u32 s5, s0
	s_cselect_b32 s5, -1, 0
	s_cmp_lt_u32 s1, s11
	s_cselect_b32 s1, -1, 0
	s_or_b32 s1, s1, s5
	s_mov_b32 s5, -1
	s_and_b32 vcc_lo, exec_lo, s1
	s_mov_b32 s1, s17
	s_cbranch_vccnz .LBB22_16
; %bb.15:                               ;   in Loop: Header=BB22_9 Depth=1
	s_add_i32 s1, s17, -1
	s_mov_b32 s5, 0
	s_mov_b32 s20, s0
.LBB22_16:                              ;   in Loop: Header=BB22_9 Depth=1
	v_mad_u64_u32 v[7:8], null, 0x380, s17, v[3:4]
	s_load_dwordx2 s[6:7], s[6:7], 0x0
	v_ashrrev_i32_e32 v8, 31, v7
	v_lshlrev_b64 v[7:8], 2, v[7:8]
	v_add_co_u32 v7, vcc_lo, s2, v7
	v_add_co_ci_u32_e64 v8, null, s15, v8, vcc_lo
	s_waitcnt lgkmcnt(0)
	v_max_f32_e64 v9, s6, s6
	global_load_dword v8, v[7:8], off
	v_max_f32_e32 v7, v6, v6
	v_max_f32_e32 v7, v7, v9
	v_sub_f32_e32 v9, s6, v7
	v_sub_f32_e32 v10, v6, v7
	v_mul_f32_e32 v11, 0x3fb8aa3b, v9
	v_mul_f32_e32 v12, 0x3fb8aa3b, v10
	v_cmp_ngt_f32_e32 vcc_lo, 0xc2ce8ed0, v9
	v_fma_f32 v13, 0x3fb8aa3b, v9, -v11
	v_rndne_f32_e32 v14, v11
	v_fma_f32 v15, 0x3fb8aa3b, v10, -v12
	v_rndne_f32_e32 v16, v12
	v_fmac_f32_e32 v13, 0x32a5705f, v9
	v_sub_f32_e32 v11, v11, v14
	v_fmac_f32_e32 v15, 0x32a5705f, v10
	v_sub_f32_e32 v12, v12, v16
	v_add_f32_e32 v11, v11, v13
	v_cvt_i32_f32_e32 v13, v14
	v_add_f32_e32 v12, v12, v15
	v_cvt_i32_f32_e32 v14, v16
	v_exp_f32_e32 v11, v11
	v_exp_f32_e32 v12, v12
	v_ldexp_f32 v11, v11, v13
	v_ldexp_f32 v12, v12, v14
	v_cndmask_b32_e32 v11, 0, v11, vcc_lo
	v_cmp_ngt_f32_e32 vcc_lo, 0xc2ce8ed0, v10
	v_cndmask_b32_e32 v12, 0, v12, vcc_lo
	v_cmp_nlt_f32_e32 vcc_lo, 0x42b17218, v9
	v_cndmask_b32_e32 v11, 0x7f800000, v11, vcc_lo
	v_cmp_nlt_f32_e32 vcc_lo, 0x42b17218, v10
	v_cndmask_b32_e32 v12, 0x7f800000, v12, vcc_lo
	v_cmp_le_f32_e32 vcc_lo, 0xc1a00000, v9
	v_cndmask_b32_e32 v9, 0, v11, vcc_lo
	v_cmp_le_f32_e32 vcc_lo, 0xc1a00000, v10
	v_cndmask_b32_e32 v10, 0, v12, vcc_lo
	s_waitcnt vmcnt(0)
	v_mul_f32_e32 v8, v8, v9
	v_mul_f32_e32 v9, s7, v9
	v_fmac_f32_e32 v8, v5, v10
	v_fmac_f32_e32 v9, v4, v10
	s_cbranch_execz .LBB22_19
.LBB22_17:                              ;   in Loop: Header=BB22_9 Depth=1
	s_andn2_b32 vcc_lo, exec_lo, s5
	s_cbranch_vccnz .LBB22_20
	s_branch .LBB22_23
.LBB22_18:                              ;   in Loop: Header=BB22_9 Depth=1
	s_andn2_b32 vcc_lo, exec_lo, s6
	s_cbranch_vccnz .LBB22_17
.LBB22_19:                              ;   in Loop: Header=BB22_9 Depth=1
	v_mov_b32_e32 v9, v4
	v_mov_b32_e32 v7, v6
	s_waitcnt vmcnt(0)
	v_mov_b32_e32 v8, v5
	s_add_i32 s1, s17, -1
	s_mov_b32 s20, s10
	s_cbranch_execz .LBB22_23
.LBB22_20:                              ;   in Loop: Header=BB22_9 Depth=1
	v_mov_b32_e32 v4, v9
	v_mov_b32_e32 v6, v7
	s_waitcnt vmcnt(0)
	v_mov_b32_e32 v5, v8
	s_mov_b32 s10, s20
	s_mov_b32 s17, s1
	s_branch .LBB22_9
.LBB22_21:
                                        ; implicit-def: $sgpr10_sgpr11
	s_load_dwordx4 s[12:15], s[4:5], 0x44
	s_branch .LBB22_2
.LBB22_22:
                                        ; implicit-def: $sgpr18_sgpr19
	s_branch .LBB22_5
.LBB22_23:
	v_div_scale_f32 v0, null, v9, v9, v8
	v_rcp_f32_e32 v3, v0
	v_fma_f32 v4, -v0, v3, 1.0
	v_fmac_f32_e32 v3, v4, v3
	v_div_scale_f32 v4, vcc_lo, v8, v9, v8
	s_waitcnt vmcnt(0)
	v_mul_f32_e32 v5, v4, v3
	v_fma_f32 v6, -v0, v5, v4
	v_fmac_f32_e32 v5, v6, v3
	v_fma_f32 v0, -v0, v5, v4
	v_div_fmas_f32 v0, v0, v3, v5
	v_div_fixup_f32 v0, v0, v9, v8
	global_store_dword v[1:2], v0, off
.LBB22_24:
	s_endpgm
	.section	.rodata,"a",@progbits
	.p2align	6, 0x0
	.amdhsa_kernel _ZL33flash_attn_stream_k_fixup_generalILi112ELi8ELi1EEvPfPK15HIP_vector_typeIfLj2EEiiiiS1_IjLj3EES5_S5_S5_
		.amdhsa_group_segment_fixed_size 0
		.amdhsa_private_segment_fixed_size 0
		.amdhsa_kernarg_size 336
		.amdhsa_user_sgpr_count 6
		.amdhsa_user_sgpr_private_segment_buffer 1
		.amdhsa_user_sgpr_dispatch_ptr 0
		.amdhsa_user_sgpr_queue_ptr 0
		.amdhsa_user_sgpr_kernarg_segment_ptr 1
		.amdhsa_user_sgpr_dispatch_id 0
		.amdhsa_user_sgpr_flat_scratch_init 0
		.amdhsa_user_sgpr_private_segment_size 0
		.amdhsa_wavefront_size32 1
		.amdhsa_uses_dynamic_stack 0
		.amdhsa_system_sgpr_private_segment_wavefront_offset 0
		.amdhsa_system_sgpr_workgroup_id_x 1
		.amdhsa_system_sgpr_workgroup_id_y 1
		.amdhsa_system_sgpr_workgroup_id_z 1
		.amdhsa_system_sgpr_workgroup_info 0
		.amdhsa_system_vgpr_workitem_id 0
		.amdhsa_next_free_vgpr 17
		.amdhsa_next_free_sgpr 31
		.amdhsa_reserve_vcc 1
		.amdhsa_reserve_flat_scratch 0
		.amdhsa_float_round_mode_32 0
		.amdhsa_float_round_mode_16_64 0
		.amdhsa_float_denorm_mode_32 3
		.amdhsa_float_denorm_mode_16_64 3
		.amdhsa_dx10_clamp 1
		.amdhsa_ieee_mode 1
		.amdhsa_fp16_overflow 0
		.amdhsa_workgroup_processor_mode 1
		.amdhsa_memory_ordered 1
		.amdhsa_forward_progress 1
		.amdhsa_shared_vgpr_count 0
		.amdhsa_exception_fp_ieee_invalid_op 0
		.amdhsa_exception_fp_denorm_src 0
		.amdhsa_exception_fp_ieee_div_zero 0
		.amdhsa_exception_fp_ieee_overflow 0
		.amdhsa_exception_fp_ieee_underflow 0
		.amdhsa_exception_fp_ieee_inexact 0
		.amdhsa_exception_int_div_zero 0
	.end_amdhsa_kernel
	.section	.text._ZL33flash_attn_stream_k_fixup_generalILi112ELi8ELi1EEvPfPK15HIP_vector_typeIfLj2EEiiiiS1_IjLj3EES5_S5_S5_,"axG",@progbits,_ZL33flash_attn_stream_k_fixup_generalILi112ELi8ELi1EEvPfPK15HIP_vector_typeIfLj2EEiiiiS1_IjLj3EES5_S5_S5_,comdat
.Lfunc_end22:
	.size	_ZL33flash_attn_stream_k_fixup_generalILi112ELi8ELi1EEvPfPK15HIP_vector_typeIfLj2EEiiiiS1_IjLj3EES5_S5_S5_, .Lfunc_end22-_ZL33flash_attn_stream_k_fixup_generalILi112ELi8ELi1EEvPfPK15HIP_vector_typeIfLj2EEiiiiS1_IjLj3EES5_S5_S5_
                                        ; -- End function
	.set _ZL33flash_attn_stream_k_fixup_generalILi112ELi8ELi1EEvPfPK15HIP_vector_typeIfLj2EEiiiiS1_IjLj3EES5_S5_S5_.num_vgpr, 17
	.set _ZL33flash_attn_stream_k_fixup_generalILi112ELi8ELi1EEvPfPK15HIP_vector_typeIfLj2EEiiiiS1_IjLj3EES5_S5_S5_.num_agpr, 0
	.set _ZL33flash_attn_stream_k_fixup_generalILi112ELi8ELi1EEvPfPK15HIP_vector_typeIfLj2EEiiiiS1_IjLj3EES5_S5_S5_.numbered_sgpr, 31
	.set _ZL33flash_attn_stream_k_fixup_generalILi112ELi8ELi1EEvPfPK15HIP_vector_typeIfLj2EEiiiiS1_IjLj3EES5_S5_S5_.num_named_barrier, 0
	.set _ZL33flash_attn_stream_k_fixup_generalILi112ELi8ELi1EEvPfPK15HIP_vector_typeIfLj2EEiiiiS1_IjLj3EES5_S5_S5_.private_seg_size, 0
	.set _ZL33flash_attn_stream_k_fixup_generalILi112ELi8ELi1EEvPfPK15HIP_vector_typeIfLj2EEiiiiS1_IjLj3EES5_S5_S5_.uses_vcc, 1
	.set _ZL33flash_attn_stream_k_fixup_generalILi112ELi8ELi1EEvPfPK15HIP_vector_typeIfLj2EEiiiiS1_IjLj3EES5_S5_S5_.uses_flat_scratch, 0
	.set _ZL33flash_attn_stream_k_fixup_generalILi112ELi8ELi1EEvPfPK15HIP_vector_typeIfLj2EEiiiiS1_IjLj3EES5_S5_S5_.has_dyn_sized_stack, 0
	.set _ZL33flash_attn_stream_k_fixup_generalILi112ELi8ELi1EEvPfPK15HIP_vector_typeIfLj2EEiiiiS1_IjLj3EES5_S5_S5_.has_recursion, 0
	.set _ZL33flash_attn_stream_k_fixup_generalILi112ELi8ELi1EEvPfPK15HIP_vector_typeIfLj2EEiiiiS1_IjLj3EES5_S5_S5_.has_indirect_call, 0
	.section	.AMDGPU.csdata,"",@progbits
; Kernel info:
; codeLenInByte = 2940
; TotalNumSgprs: 33
; NumVgprs: 17
; ScratchSize: 0
; MemoryBound: 0
; FloatMode: 240
; IeeeMode: 1
; LDSByteSize: 0 bytes/workgroup (compile time only)
; SGPRBlocks: 0
; VGPRBlocks: 2
; NumSGPRsForWavesPerEU: 33
; NumVGPRsForWavesPerEU: 17
; Occupancy: 16
; WaveLimiterHint : 0
; COMPUTE_PGM_RSRC2:SCRATCH_EN: 0
; COMPUTE_PGM_RSRC2:USER_SGPR: 6
; COMPUTE_PGM_RSRC2:TRAP_HANDLER: 0
; COMPUTE_PGM_RSRC2:TGID_X_EN: 1
; COMPUTE_PGM_RSRC2:TGID_Y_EN: 1
; COMPUTE_PGM_RSRC2:TGID_Z_EN: 1
; COMPUTE_PGM_RSRC2:TIDIG_COMP_CNT: 0
	.section	.text._ZL26flash_attn_combine_resultsILi112EEvPKfPK15HIP_vector_typeIfLj2EEPfi,"axG",@progbits,_ZL26flash_attn_combine_resultsILi112EEvPKfPK15HIP_vector_typeIfLj2EEPfi,comdat
	.globl	_ZL26flash_attn_combine_resultsILi112EEvPKfPK15HIP_vector_typeIfLj2EEPfi ; -- Begin function _ZL26flash_attn_combine_resultsILi112EEvPKfPK15HIP_vector_typeIfLj2EEPfi
	.p2align	8
	.type	_ZL26flash_attn_combine_resultsILi112EEvPKfPK15HIP_vector_typeIfLj2EEPfi,@function
_ZL26flash_attn_combine_resultsILi112EEvPKfPK15HIP_vector_typeIfLj2EEPfi: ; @_ZL26flash_attn_combine_resultsILi112EEvPKfPK15HIP_vector_typeIfLj2EEPfi
; %bb.0:
	s_clause 0x3
	s_load_dwordx2 s[2:3], s[4:5], 0x20
	s_load_dword s9, s[4:5], 0x18
	s_load_dwordx4 s[12:15], s[4:5], 0x0
	s_load_dwordx2 s[10:11], s[4:5], 0x10
	v_lshlrev_b32_e32 v5, 2, v0
	s_mov_b32 s4, exec_lo
	s_waitcnt lgkmcnt(0)
	s_mul_i32 s0, s2, s8
	s_lshl_b32 s1, s9, 1
	s_add_i32 s0, s0, s6
	s_mul_i32 s8, s0, s3
	s_add_i32 s8, s8, s7
	s_mul_i32 s2, s8, s9
	v_cmpx_gt_i32_e64 s1, v0
	s_cbranch_execz .LBB23_3
; %bb.1:
	s_ashr_i32 s3, s2, 31
	v_add_nc_u32_e32 v3, 0, v5
	s_lshl_b64 s[6:7], s[2:3], 3
	v_mov_b32_e32 v4, v0
	s_add_u32 s0, s14, s6
	s_addc_u32 s3, s15, s7
	v_add_co_u32 v1, s0, s0, v5
	v_add_co_ci_u32_e64 v2, null, s3, 0, s0
	s_mov_b32 s3, 0
	.p2align	6
.LBB23_2:                               ; =>This Inner Loop Header: Depth=1
	global_load_dword v6, v[1:2], off
	v_add_nc_u32_e32 v4, 0x70, v4
	v_add_co_u32 v1, vcc_lo, 0x1c0, v1
	v_add_co_ci_u32_e64 v2, null, 0, v2, vcc_lo
	v_cmp_le_i32_e64 s0, s1, v4
	s_or_b32 s3, s0, s3
	s_waitcnt vmcnt(0)
	ds_write_b32 v3, v6
	v_add_nc_u32_e32 v3, 0x1c0, v3
	s_andn2_b32 exec_lo, exec_lo, s3
	s_cbranch_execnz .LBB23_2
.LBB23_3:
	s_or_b32 exec_lo, exec_lo, s4
	v_mov_b32_e32 v1, 0
	s_waitcnt lgkmcnt(0)
	s_barrier
	buffer_gl0_inv
	s_cmp_lt_i32 s9, 2
	ds_read_b32 v6, v1
	s_cbranch_scc1 .LBB23_11
; %bb.4:
	s_add_i32 s1, s9, -2
	s_add_i32 s0, s9, -1
	s_cmp_lt_u32 s1, 7
	s_cbranch_scc1 .LBB23_8
; %bb.5:
	s_mov_b32 s3, 0
	s_add_i32 s1, 0, 8
	s_and_b32 s4, s0, -8
	.p2align	6
.LBB23_6:                               ; =>This Inner Loop Header: Depth=1
	v_mov_b32_e32 v9, s1
	s_mov_b32 s5, s3
	s_add_i32 s3, s3, 8
	s_add_i32 s1, s1, 64
	s_cmp_eq_u32 s4, s3
	ds_read2_b32 v[1:2], v9 offset1:2
	ds_read2_b32 v[3:4], v9 offset0:4 offset1:6
	ds_read2_b32 v[7:8], v9 offset0:8 offset1:10
	;; [unrolled: 1-line block ×3, first 2 shown]
	s_waitcnt lgkmcnt(3)
	v_max3_f32 v1, v6, v1, v2
	s_waitcnt lgkmcnt(2)
	v_max3_f32 v1, v1, v3, v4
	;; [unrolled: 2-line block ×4, first 2 shown]
	s_cbranch_scc0 .LBB23_6
; %bb.7:
	s_add_i32 s1, s5, 9
	s_and_b32 s0, s0, 7
	s_cmp_eq_u32 s0, 0
	s_cbranch_scc0 .LBB23_9
	s_branch .LBB23_11
.LBB23_8:
	s_mov_b32 s1, 1
	s_and_b32 s0, s0, 7
	s_cmp_eq_u32 s0, 0
	s_cbranch_scc1 .LBB23_11
.LBB23_9:
	s_lshl_b32 s1, s1, 3
	s_add_i32 s1, s1, 0
.LBB23_10:                              ; =>This Inner Loop Header: Depth=1
	v_mov_b32_e32 v1, s1
	s_waitcnt lgkmcnt(0)
	v_max_f32_e32 v2, v6, v6
	s_add_i32 s0, s0, -1
	s_add_i32 s1, s1, 8
	s_cmp_lg_u32 s0, 0
	ds_read_b32 v1, v1
	s_waitcnt lgkmcnt(0)
	v_max_f32_e32 v1, v1, v1
	v_max_f32_e32 v6, v2, v1
	s_cbranch_scc1 .LBB23_10
.LBB23_11:
	s_cmp_lt_i32 s9, 1
	s_cbranch_scc1 .LBB23_16
; %bb.12:
	s_mul_i32 s6, s2, 0x70
	s_ashr_i32 s7, s6, 31
	s_cmp_lt_u32 s9, 8
	s_cbranch_scc1 .LBB23_17
; %bb.13:
	s_lshl_b64 s[0:1], s[6:7], 2
	v_add_nc_u32_e32 v1, 0x1c0, v0
	v_mov_b32_e32 v4, 0
	v_mov_b32_e32 v7, 0
	;; [unrolled: 1-line block ×3, first 2 shown]
	s_add_u32 s15, s12, s0
	s_addc_u32 s16, s13, s1
	s_and_b32 s14, s9, 0x7ffffff8
	s_mov_b32 s17, 0
	s_mov_b32 s18, 0
.LBB23_14:                              ; =>This Inner Loop Header: Depth=1
	v_add_nc_u32_e32 v3, 0xfffffe40, v1
	v_mov_b32_e32 v2, v4
	s_add_i32 s17, s17, 8
	v_lshlrev_b64 v[9:10], 2, v[3:4]
	v_add_nc_u32_e32 v3, 0xfffffeb0, v1
	v_lshlrev_b64 v[11:12], 2, v[1:2]
	v_lshlrev_b64 v[13:14], 2, v[3:4]
	v_add_co_u32 v9, vcc_lo, s15, v9
	v_add_nc_u32_e32 v3, 0xffffff20, v1
	v_add_co_ci_u32_e64 v10, null, s16, v10, vcc_lo
	v_add_co_u32 v11, vcc_lo, s15, v11
	v_add_co_ci_u32_e64 v12, null, s16, v12, vcc_lo
	v_add_co_u32 v13, vcc_lo, s15, v13
	v_lshlrev_b64 v[15:16], 2, v[3:4]
	v_add_nc_u32_e32 v3, 0xffffff90, v1
	v_add_co_ci_u32_e64 v14, null, s16, v14, vcc_lo
	s_clause 0x1
	global_load_dword v25, v[9:10], off
	global_load_dword v29, v[11:12], off
	v_lshlrev_b64 v[9:10], 2, v[3:4]
	global_load_dword v26, v[13:14], off
	v_add_co_u32 v13, vcc_lo, s15, v15
	v_add_nc_u32_e32 v3, 0x70, v1
	v_add_co_ci_u32_e64 v14, null, s16, v16, vcc_lo
	v_add_co_u32 v9, vcc_lo, s15, v9
	v_lshlrev_b64 v[15:16], 2, v[3:4]
	v_add_nc_u32_e32 v3, 0xe0, v1
	v_add_co_ci_u32_e64 v10, null, s16, v10, vcc_lo
	s_clause 0x1
	global_load_dword v27, v[13:14], off
	global_load_dword v28, v[9:10], off
	v_lshlrev_b64 v[13:14], 2, v[3:4]
	v_add_nc_u32_e32 v3, 0x150, v1
	v_add_co_u32 v9, vcc_lo, s15, v15
	v_add_co_ci_u32_e64 v10, null, s16, v16, vcc_lo
	v_lshlrev_b64 v[2:3], 2, v[3:4]
	v_add_nc_u32_e32 v1, 0x380, v1
	global_load_dword v30, v[9:10], off
	v_add_co_u32 v9, vcc_lo, s15, v13
	v_add_co_ci_u32_e64 v10, null, s16, v14, vcc_lo
	v_add_co_u32 v2, vcc_lo, s15, v2
	v_add_co_ci_u32_e64 v3, null, s16, v3, vcc_lo
	s_clause 0x1
	global_load_dword v31, v[9:10], off
	global_load_dword v2, v[2:3], off
	v_mov_b32_e32 v3, s18
	ds_read2_b64 v[9:12], v3 offset1:1
	ds_read2_b64 v[13:16], v3 offset0:2 offset1:3
	ds_read2_b64 v[17:20], v3 offset0:4 offset1:5
	;; [unrolled: 1-line block ×3, first 2 shown]
	s_add_i32 s18, s18, 64
	s_cmp_eq_u32 s14, s17
	s_waitcnt lgkmcnt(3)
	v_sub_f32_e32 v3, v9, v6
	v_sub_f32_e32 v9, v11, v6
	s_waitcnt lgkmcnt(2)
	v_sub_f32_e32 v11, v13, v6
	v_sub_f32_e32 v13, v15, v6
	;; [unrolled: 3-line block ×4, first 2 shown]
	v_mul_f32_e32 v23, 0x3fb8aa3b, v3
	v_mul_f32_e32 v32, 0x3fb8aa3b, v9
	;; [unrolled: 1-line block ×5, first 2 shown]
	v_fma_f32 v39, 0x3fb8aa3b, v3, -v23
	v_rndne_f32_e32 v40, v23
	v_fma_f32 v41, 0x3fb8aa3b, v9, -v32
	v_rndne_f32_e32 v42, v32
	v_fma_f32 v43, 0x3fb8aa3b, v11, -v33
	v_fmac_f32_e32 v39, 0x32a5705f, v3
	v_sub_f32_e32 v23, v23, v40
	v_rndne_f32_e32 v44, v33
	v_fmac_f32_e32 v41, 0x32a5705f, v9
	v_sub_f32_e32 v32, v32, v42
	v_fmac_f32_e32 v43, 0x32a5705f, v11
	v_add_f32_e32 v23, v23, v39
	v_sub_f32_e32 v33, v33, v44
	v_fma_f32 v45, 0x3fb8aa3b, v13, -v34
	v_add_f32_e32 v32, v32, v41
	v_rndne_f32_e32 v46, v34
	v_exp_f32_e32 v23, v23
	v_add_f32_e32 v33, v33, v43
	v_cvt_i32_f32_e32 v40, v40
	v_exp_f32_e32 v32, v32
	v_mul_f32_e32 v36, 0x3fb8aa3b, v17
	v_fma_f32 v47, 0x3fb8aa3b, v15, -v35
	v_rndne_f32_e32 v48, v35
	v_cvt_i32_f32_e32 v42, v42
	v_fmac_f32_e32 v45, 0x32a5705f, v13
	v_sub_f32_e32 v34, v34, v46
	v_exp_f32_e32 v33, v33
	v_ldexp_f32 v23, v23, v40
	v_cmp_ngt_f32_e64 s5, 0xc2ce8ed0, v3
	v_mul_f32_e32 v37, 0x3fb8aa3b, v19
	v_fma_f32 v49, 0x3fb8aa3b, v17, -v36
	v_rndne_f32_e32 v50, v36
	v_cvt_i32_f32_e32 v44, v44
	v_fmac_f32_e32 v47, 0x32a5705f, v15
	v_sub_f32_e32 v35, v35, v48
	v_add_f32_e32 v34, v34, v45
	v_ldexp_f32 v32, v32, v42
	v_cndmask_b32_e64 v23, 0, v23, s5
	v_cmp_ngt_f32_e64 s5, 0xc2ce8ed0, v9
	v_mul_f32_e32 v38, 0x3fb8aa3b, v21
	v_fma_f32 v51, 0x3fb8aa3b, v19, -v37
	v_rndne_f32_e32 v39, v37
	v_fmac_f32_e32 v49, 0x32a5705f, v17
	v_sub_f32_e32 v36, v36, v50
	v_add_f32_e32 v35, v35, v47
	v_exp_f32_e32 v34, v34
	v_ldexp_f32 v33, v33, v44
	v_cmp_ngt_f32_e32 vcc_lo, 0xc2ce8ed0, v11
	v_cndmask_b32_e64 v32, 0, v32, s5
	v_cmp_nlt_f32_e64 s5, 0x42b17218, v3
	v_fma_f32 v41, 0x3fb8aa3b, v21, -v38
	v_rndne_f32_e32 v43, v38
	v_cvt_i32_f32_e32 v46, v46
	v_fmac_f32_e32 v51, 0x32a5705f, v19
	v_sub_f32_e32 v37, v37, v39
	v_add_f32_e32 v36, v36, v49
	v_exp_f32_e32 v35, v35
	v_cndmask_b32_e64 v3, 0x7f800000, v23, s5
	v_cndmask_b32_e32 v23, 0, v33, vcc_lo
	v_cmp_nlt_f32_e32 vcc_lo, 0x42b17218, v9
	v_cvt_i32_f32_e32 v48, v48
	v_fmac_f32_e32 v41, 0x32a5705f, v21
	v_sub_f32_e32 v38, v38, v43
	v_add_f32_e32 v37, v37, v51
	v_exp_f32_e32 v36, v36
	v_ldexp_f32 v34, v34, v46
	v_cmp_ngt_f32_e64 s0, 0xc2ce8ed0, v13
	v_cndmask_b32_e32 v9, 0x7f800000, v32, vcc_lo
	v_fmac_f32_e32 v8, v3, v10
	v_cmp_nlt_f32_e32 vcc_lo, 0x42b17218, v11
	v_cvt_i32_f32_e32 v50, v50
	v_add_f32_e32 v38, v38, v41
	v_exp_f32_e32 v37, v37
	v_ldexp_f32 v35, v35, v48
	v_cmp_ngt_f32_e64 s1, 0xc2ce8ed0, v15
	v_cndmask_b32_e32 v10, 0x7f800000, v23, vcc_lo
	v_fmac_f32_e32 v8, v9, v12
	v_cmp_nlt_f32_e32 vcc_lo, 0x42b17218, v13
	v_cvt_i32_f32_e32 v39, v39
	v_exp_f32_e32 v38, v38
	v_ldexp_f32 v36, v36, v50
	v_cmp_ngt_f32_e64 s2, 0xc2ce8ed0, v17
	v_fmac_f32_e32 v8, v10, v14
	v_cvt_i32_f32_e32 v43, v43
	v_ldexp_f32 v37, v37, v39
	v_cmp_ngt_f32_e64 s3, 0xc2ce8ed0, v19
	v_cmp_ngt_f32_e64 s4, 0xc2ce8ed0, v21
	v_ldexp_f32 v38, v38, v43
	s_waitcnt vmcnt(7)
	v_fmac_f32_e32 v7, v25, v3
	v_cndmask_b32_e64 v3, 0, v34, s0
	s_waitcnt vmcnt(5)
	v_fmac_f32_e32 v7, v26, v9
	v_cndmask_b32_e64 v9, 0, v35, s1
	v_cndmask_b32_e32 v3, 0x7f800000, v3, vcc_lo
	v_cmp_nlt_f32_e32 vcc_lo, 0x42b17218, v15
	v_fmac_f32_e32 v8, v3, v16
	v_cndmask_b32_e32 v9, 0x7f800000, v9, vcc_lo
	v_cmp_nlt_f32_e32 vcc_lo, 0x42b17218, v17
	s_waitcnt vmcnt(4)
	v_fmac_f32_e32 v7, v27, v10
	v_cndmask_b32_e64 v10, 0, v36, s2
	v_fmac_f32_e32 v8, v9, v18
	s_waitcnt vmcnt(3)
	v_fmac_f32_e32 v7, v28, v3
	v_cndmask_b32_e64 v3, 0, v37, s3
	v_cndmask_b32_e32 v10, 0x7f800000, v10, vcc_lo
	v_cmp_nlt_f32_e32 vcc_lo, 0x42b17218, v19
	v_fmac_f32_e32 v7, v29, v9
	v_cndmask_b32_e64 v9, 0, v38, s4
	v_fmac_f32_e32 v8, v10, v20
	v_cndmask_b32_e32 v3, 0x7f800000, v3, vcc_lo
	v_cmp_nlt_f32_e32 vcc_lo, 0x42b17218, v21
	s_waitcnt vmcnt(2)
	v_fmac_f32_e32 v7, v30, v10
	v_fmac_f32_e32 v8, v3, v22
	v_cndmask_b32_e32 v9, 0x7f800000, v9, vcc_lo
	s_waitcnt vmcnt(1)
	v_fmac_f32_e32 v7, v31, v3
	v_fmac_f32_e32 v8, v9, v24
	s_waitcnt vmcnt(0)
	v_fmac_f32_e32 v7, v2, v9
	s_cbranch_scc0 .LBB23_14
; %bb.15:
	s_and_b32 s1, s9, 7
	s_cmp_eq_u32 s1, 0
	s_cbranch_scc0 .LBB23_18
	s_branch .LBB23_20
.LBB23_16:
	v_mov_b32_e32 v0, 0x7fc00000
	s_branch .LBB23_21
.LBB23_17:
	v_mov_b32_e32 v7, 0
	v_mov_b32_e32 v8, 0
	s_mov_b32 s14, 0
	s_and_b32 s1, s9, 7
	s_cmp_eq_u32 s1, 0
	s_cbranch_scc1 .LBB23_20
.LBB23_18:
	v_mad_u64_u32 v[0:1], null, 0x70, s14, v[0:1]
	v_mov_b32_e32 v1, 0
	s_lshl_b64 s[2:3], s[6:7], 2
	s_add_u32 s0, s12, s2
	s_addc_u32 s2, s13, s3
	v_lshlrev_b64 v[0:1], 2, v[0:1]
	v_add_co_u32 v0, vcc_lo, s0, v0
	v_add_co_ci_u32_e64 v1, null, s2, v1, vcc_lo
	s_lshl_b32 s0, s14, 3
	s_add_i32 s2, s0, 0
	s_inst_prefetch 0x1
	.p2align	6
.LBB23_19:                              ; =>This Inner Loop Header: Depth=1
	global_load_dword v4, v[0:1], off
	v_mov_b32_e32 v2, s2
	s_add_i32 s1, s1, -1
	s_add_i32 s2, s2, 8
	s_cmp_lg_u32 s1, 0
	ds_read_b64 v[2:3], v2
	s_waitcnt lgkmcnt(0)
	v_sub_f32_e32 v2, v2, v6
	v_mul_f32_e32 v9, 0x3fb8aa3b, v2
	v_cmp_ngt_f32_e32 vcc_lo, 0xc2ce8ed0, v2
	v_cmp_nlt_f32_e64 s0, 0x42b17218, v2
	v_fma_f32 v10, 0x3fb8aa3b, v2, -v9
	v_rndne_f32_e32 v11, v9
	v_fmac_f32_e32 v10, 0x32a5705f, v2
	v_sub_f32_e32 v9, v9, v11
	v_add_f32_e32 v9, v9, v10
	v_cvt_i32_f32_e32 v10, v11
	v_exp_f32_e32 v9, v9
	v_ldexp_f32 v9, v9, v10
	v_cndmask_b32_e32 v9, 0, v9, vcc_lo
	v_add_co_u32 v0, vcc_lo, 0x1c0, v0
	v_add_co_ci_u32_e64 v1, null, 0, v1, vcc_lo
	v_cndmask_b32_e64 v2, 0x7f800000, v9, s0
	v_fmac_f32_e32 v8, v2, v3
	s_waitcnt vmcnt(0)
	v_fmac_f32_e32 v7, v4, v2
	s_cbranch_scc1 .LBB23_19
.LBB23_20:
	s_inst_prefetch 0x2
	v_div_scale_f32 v0, null, v8, v8, v7
	v_rcp_f32_e32 v1, v0
	v_fma_f32 v2, -v0, v1, 1.0
	v_fmac_f32_e32 v1, v2, v1
	v_div_scale_f32 v2, vcc_lo, v7, v8, v7
	v_mul_f32_e32 v3, v2, v1
	v_fma_f32 v4, -v0, v3, v2
	v_fmac_f32_e32 v3, v4, v1
	v_fma_f32 v0, -v0, v3, v2
	v_div_fmas_f32 v0, v0, v1, v3
	v_div_fixup_f32 v0, v0, v8, v7
.LBB23_21:
	s_mul_i32 s0, s8, 0x70
	s_ashr_i32 s1, s0, 31
	s_lshl_b64 s[0:1], s[0:1], 2
	s_add_u32 s0, s10, s0
	s_addc_u32 s1, s11, s1
	global_store_dword v5, v0, s[0:1]
	s_endpgm
	.section	.rodata,"a",@progbits
	.p2align	6, 0x0
	.amdhsa_kernel _ZL26flash_attn_combine_resultsILi112EEvPKfPK15HIP_vector_typeIfLj2EEPfi
		.amdhsa_group_segment_fixed_size 0
		.amdhsa_private_segment_fixed_size 0
		.amdhsa_kernarg_size 288
		.amdhsa_user_sgpr_count 6
		.amdhsa_user_sgpr_private_segment_buffer 1
		.amdhsa_user_sgpr_dispatch_ptr 0
		.amdhsa_user_sgpr_queue_ptr 0
		.amdhsa_user_sgpr_kernarg_segment_ptr 1
		.amdhsa_user_sgpr_dispatch_id 0
		.amdhsa_user_sgpr_flat_scratch_init 0
		.amdhsa_user_sgpr_private_segment_size 0
		.amdhsa_wavefront_size32 1
		.amdhsa_uses_dynamic_stack 0
		.amdhsa_system_sgpr_private_segment_wavefront_offset 0
		.amdhsa_system_sgpr_workgroup_id_x 1
		.amdhsa_system_sgpr_workgroup_id_y 1
		.amdhsa_system_sgpr_workgroup_id_z 1
		.amdhsa_system_sgpr_workgroup_info 0
		.amdhsa_system_vgpr_workitem_id 0
		.amdhsa_next_free_vgpr 52
		.amdhsa_next_free_sgpr 19
		.amdhsa_reserve_vcc 1
		.amdhsa_reserve_flat_scratch 0
		.amdhsa_float_round_mode_32 0
		.amdhsa_float_round_mode_16_64 0
		.amdhsa_float_denorm_mode_32 3
		.amdhsa_float_denorm_mode_16_64 3
		.amdhsa_dx10_clamp 1
		.amdhsa_ieee_mode 1
		.amdhsa_fp16_overflow 0
		.amdhsa_workgroup_processor_mode 1
		.amdhsa_memory_ordered 1
		.amdhsa_forward_progress 1
		.amdhsa_shared_vgpr_count 0
		.amdhsa_exception_fp_ieee_invalid_op 0
		.amdhsa_exception_fp_denorm_src 0
		.amdhsa_exception_fp_ieee_div_zero 0
		.amdhsa_exception_fp_ieee_overflow 0
		.amdhsa_exception_fp_ieee_underflow 0
		.amdhsa_exception_fp_ieee_inexact 0
		.amdhsa_exception_int_div_zero 0
	.end_amdhsa_kernel
	.section	.text._ZL26flash_attn_combine_resultsILi112EEvPKfPK15HIP_vector_typeIfLj2EEPfi,"axG",@progbits,_ZL26flash_attn_combine_resultsILi112EEvPKfPK15HIP_vector_typeIfLj2EEPfi,comdat
.Lfunc_end23:
	.size	_ZL26flash_attn_combine_resultsILi112EEvPKfPK15HIP_vector_typeIfLj2EEPfi, .Lfunc_end23-_ZL26flash_attn_combine_resultsILi112EEvPKfPK15HIP_vector_typeIfLj2EEPfi
                                        ; -- End function
	.set _ZL26flash_attn_combine_resultsILi112EEvPKfPK15HIP_vector_typeIfLj2EEPfi.num_vgpr, 52
	.set _ZL26flash_attn_combine_resultsILi112EEvPKfPK15HIP_vector_typeIfLj2EEPfi.num_agpr, 0
	.set _ZL26flash_attn_combine_resultsILi112EEvPKfPK15HIP_vector_typeIfLj2EEPfi.numbered_sgpr, 19
	.set _ZL26flash_attn_combine_resultsILi112EEvPKfPK15HIP_vector_typeIfLj2EEPfi.num_named_barrier, 0
	.set _ZL26flash_attn_combine_resultsILi112EEvPKfPK15HIP_vector_typeIfLj2EEPfi.private_seg_size, 0
	.set _ZL26flash_attn_combine_resultsILi112EEvPKfPK15HIP_vector_typeIfLj2EEPfi.uses_vcc, 1
	.set _ZL26flash_attn_combine_resultsILi112EEvPKfPK15HIP_vector_typeIfLj2EEPfi.uses_flat_scratch, 0
	.set _ZL26flash_attn_combine_resultsILi112EEvPKfPK15HIP_vector_typeIfLj2EEPfi.has_dyn_sized_stack, 0
	.set _ZL26flash_attn_combine_resultsILi112EEvPKfPK15HIP_vector_typeIfLj2EEPfi.has_recursion, 0
	.set _ZL26flash_attn_combine_resultsILi112EEvPKfPK15HIP_vector_typeIfLj2EEPfi.has_indirect_call, 0
	.section	.AMDGPU.csdata,"",@progbits
; Kernel info:
; codeLenInByte = 2264
; TotalNumSgprs: 21
; NumVgprs: 52
; ScratchSize: 0
; MemoryBound: 0
; FloatMode: 240
; IeeeMode: 1
; LDSByteSize: 0 bytes/workgroup (compile time only)
; SGPRBlocks: 0
; VGPRBlocks: 6
; NumSGPRsForWavesPerEU: 21
; NumVGPRsForWavesPerEU: 52
; Occupancy: 16
; WaveLimiterHint : 0
; COMPUTE_PGM_RSRC2:SCRATCH_EN: 0
; COMPUTE_PGM_RSRC2:USER_SGPR: 6
; COMPUTE_PGM_RSRC2:TRAP_HANDLER: 0
; COMPUTE_PGM_RSRC2:TGID_X_EN: 1
; COMPUTE_PGM_RSRC2:TGID_Y_EN: 1
; COMPUTE_PGM_RSRC2:TGID_Z_EN: 1
; COMPUTE_PGM_RSRC2:TIDIG_COMP_CNT: 0
	.section	.text._ZL18flash_attn_ext_f16ILi128ELi128ELi8ELi1ELb0ELb0EEvPKcS1_S1_S1_S1_PKiPfP15HIP_vector_typeIfLj2EEffffjfiS5_IjLj3EEiiiiiiiiiiiliiliiiiil,"axG",@progbits,_ZL18flash_attn_ext_f16ILi128ELi128ELi8ELi1ELb0ELb0EEvPKcS1_S1_S1_S1_PKiPfP15HIP_vector_typeIfLj2EEffffjfiS5_IjLj3EEiiiiiiiiiiiliiliiiiil,comdat
	.globl	_ZL18flash_attn_ext_f16ILi128ELi128ELi8ELi1ELb0ELb0EEvPKcS1_S1_S1_S1_PKiPfP15HIP_vector_typeIfLj2EEffffjfiS5_IjLj3EEiiiiiiiiiiiliiliiiiil ; -- Begin function _ZL18flash_attn_ext_f16ILi128ELi128ELi8ELi1ELb0ELb0EEvPKcS1_S1_S1_S1_PKiPfP15HIP_vector_typeIfLj2EEffffjfiS5_IjLj3EEiiiiiiiiiiiliiliiiiil
	.p2align	8
	.type	_ZL18flash_attn_ext_f16ILi128ELi128ELi8ELi1ELb0ELb0EEvPKcS1_S1_S1_S1_PKiPfP15HIP_vector_typeIfLj2EEffffjfiS5_IjLj3EEiiiiiiiiiiiliiliiiiil,@function
_ZL18flash_attn_ext_f16ILi128ELi128ELi8ELi1ELb0ELb0EEvPKcS1_S1_S1_S1_PKiPfP15HIP_vector_typeIfLj2EEffffjfiS5_IjLj3EEiiiiiiiiiiiliiliiiiil: ; @_ZL18flash_attn_ext_f16ILi128ELi128ELi8ELi1ELb0ELb0EEvPKcS1_S1_S1_S1_PKiPfP15HIP_vector_typeIfLj2EEffffjfiS5_IjLj3EEiiiiiiiiiiiliiliiiiil
; %bb.0:
	s_add_u32 s0, s0, s7
	s_addc_u32 s1, s1, 0
	s_add_u32 s8, s4, 0xd0
	s_addc_u32 s9, s5, 0
	s_getpc_b64 s[4:5]
	s_add_u32 s4, s4, _ZL14no_device_codePKciS0_iS0_@rel32@lo+4
	s_addc_u32 s5, s5, _ZL14no_device_codePKciS0_iS0_@rel32@hi+12
	s_mov_b32 s32, 0
	s_swappc_b64 s[30:31], s[4:5]
	.section	.rodata,"a",@progbits
	.p2align	6, 0x0
	.amdhsa_kernel _ZL18flash_attn_ext_f16ILi128ELi128ELi8ELi1ELb0ELb0EEvPKcS1_S1_S1_S1_PKiPfP15HIP_vector_typeIfLj2EEffffjfiS5_IjLj3EEiiiiiiiiiiiliiliiiiil
		.amdhsa_group_segment_fixed_size 0
		.amdhsa_private_segment_fixed_size 16
		.amdhsa_kernarg_size 464
		.amdhsa_user_sgpr_count 6
		.amdhsa_user_sgpr_private_segment_buffer 1
		.amdhsa_user_sgpr_dispatch_ptr 0
		.amdhsa_user_sgpr_queue_ptr 0
		.amdhsa_user_sgpr_kernarg_segment_ptr 1
		.amdhsa_user_sgpr_dispatch_id 0
		.amdhsa_user_sgpr_flat_scratch_init 0
		.amdhsa_user_sgpr_private_segment_size 0
		.amdhsa_wavefront_size32 1
		.amdhsa_uses_dynamic_stack 0
		.amdhsa_system_sgpr_private_segment_wavefront_offset 1
		.amdhsa_system_sgpr_workgroup_id_x 1
		.amdhsa_system_sgpr_workgroup_id_y 0
		.amdhsa_system_sgpr_workgroup_id_z 0
		.amdhsa_system_sgpr_workgroup_info 0
		.amdhsa_system_vgpr_workitem_id 0
		.amdhsa_next_free_vgpr 40
		.amdhsa_next_free_sgpr 34
		.amdhsa_reserve_vcc 1
		.amdhsa_reserve_flat_scratch 0
		.amdhsa_float_round_mode_32 0
		.amdhsa_float_round_mode_16_64 0
		.amdhsa_float_denorm_mode_32 3
		.amdhsa_float_denorm_mode_16_64 3
		.amdhsa_dx10_clamp 1
		.amdhsa_ieee_mode 1
		.amdhsa_fp16_overflow 0
		.amdhsa_workgroup_processor_mode 1
		.amdhsa_memory_ordered 1
		.amdhsa_forward_progress 1
		.amdhsa_shared_vgpr_count 0
		.amdhsa_exception_fp_ieee_invalid_op 0
		.amdhsa_exception_fp_denorm_src 0
		.amdhsa_exception_fp_ieee_div_zero 0
		.amdhsa_exception_fp_ieee_overflow 0
		.amdhsa_exception_fp_ieee_underflow 0
		.amdhsa_exception_fp_ieee_inexact 0
		.amdhsa_exception_int_div_zero 0
	.end_amdhsa_kernel
	.section	.text._ZL18flash_attn_ext_f16ILi128ELi128ELi8ELi1ELb0ELb0EEvPKcS1_S1_S1_S1_PKiPfP15HIP_vector_typeIfLj2EEffffjfiS5_IjLj3EEiiiiiiiiiiiliiliiiiil,"axG",@progbits,_ZL18flash_attn_ext_f16ILi128ELi128ELi8ELi1ELb0ELb0EEvPKcS1_S1_S1_S1_PKiPfP15HIP_vector_typeIfLj2EEffffjfiS5_IjLj3EEiiiiiiiiiiiliiliiiiil,comdat
.Lfunc_end24:
	.size	_ZL18flash_attn_ext_f16ILi128ELi128ELi8ELi1ELb0ELb0EEvPKcS1_S1_S1_S1_PKiPfP15HIP_vector_typeIfLj2EEffffjfiS5_IjLj3EEiiiiiiiiiiiliiliiiiil, .Lfunc_end24-_ZL18flash_attn_ext_f16ILi128ELi128ELi8ELi1ELb0ELb0EEvPKcS1_S1_S1_S1_PKiPfP15HIP_vector_typeIfLj2EEffffjfiS5_IjLj3EEiiiiiiiiiiiliiliiiiil
                                        ; -- End function
	.set _ZL18flash_attn_ext_f16ILi128ELi128ELi8ELi1ELb0ELb0EEvPKcS1_S1_S1_S1_PKiPfP15HIP_vector_typeIfLj2EEffffjfiS5_IjLj3EEiiiiiiiiiiiliiliiiiil.num_vgpr, max(0, .L_ZL14no_device_codePKciS0_iS0_.num_vgpr)
	.set _ZL18flash_attn_ext_f16ILi128ELi128ELi8ELi1ELb0ELb0EEvPKcS1_S1_S1_S1_PKiPfP15HIP_vector_typeIfLj2EEffffjfiS5_IjLj3EEiiiiiiiiiiiliiliiiiil.num_agpr, max(0, .L_ZL14no_device_codePKciS0_iS0_.num_agpr)
	.set _ZL18flash_attn_ext_f16ILi128ELi128ELi8ELi1ELb0ELb0EEvPKcS1_S1_S1_S1_PKiPfP15HIP_vector_typeIfLj2EEffffjfiS5_IjLj3EEiiiiiiiiiiiliiliiiiil.numbered_sgpr, max(33, .L_ZL14no_device_codePKciS0_iS0_.numbered_sgpr)
	.set _ZL18flash_attn_ext_f16ILi128ELi128ELi8ELi1ELb0ELb0EEvPKcS1_S1_S1_S1_PKiPfP15HIP_vector_typeIfLj2EEffffjfiS5_IjLj3EEiiiiiiiiiiiliiliiiiil.num_named_barrier, max(0, .L_ZL14no_device_codePKciS0_iS0_.num_named_barrier)
	.set _ZL18flash_attn_ext_f16ILi128ELi128ELi8ELi1ELb0ELb0EEvPKcS1_S1_S1_S1_PKiPfP15HIP_vector_typeIfLj2EEffffjfiS5_IjLj3EEiiiiiiiiiiiliiliiiiil.private_seg_size, 0+max(.L_ZL14no_device_codePKciS0_iS0_.private_seg_size)
	.set _ZL18flash_attn_ext_f16ILi128ELi128ELi8ELi1ELb0ELb0EEvPKcS1_S1_S1_S1_PKiPfP15HIP_vector_typeIfLj2EEffffjfiS5_IjLj3EEiiiiiiiiiiiliiliiiiil.uses_vcc, or(1, .L_ZL14no_device_codePKciS0_iS0_.uses_vcc)
	.set _ZL18flash_attn_ext_f16ILi128ELi128ELi8ELi1ELb0ELb0EEvPKcS1_S1_S1_S1_PKiPfP15HIP_vector_typeIfLj2EEffffjfiS5_IjLj3EEiiiiiiiiiiiliiliiiiil.uses_flat_scratch, or(0, .L_ZL14no_device_codePKciS0_iS0_.uses_flat_scratch)
	.set _ZL18flash_attn_ext_f16ILi128ELi128ELi8ELi1ELb0ELb0EEvPKcS1_S1_S1_S1_PKiPfP15HIP_vector_typeIfLj2EEffffjfiS5_IjLj3EEiiiiiiiiiiiliiliiiiil.has_dyn_sized_stack, or(0, .L_ZL14no_device_codePKciS0_iS0_.has_dyn_sized_stack)
	.set _ZL18flash_attn_ext_f16ILi128ELi128ELi8ELi1ELb0ELb0EEvPKcS1_S1_S1_S1_PKiPfP15HIP_vector_typeIfLj2EEffffjfiS5_IjLj3EEiiiiiiiiiiiliiliiiiil.has_recursion, or(0, .L_ZL14no_device_codePKciS0_iS0_.has_recursion)
	.set _ZL18flash_attn_ext_f16ILi128ELi128ELi8ELi1ELb0ELb0EEvPKcS1_S1_S1_S1_PKiPfP15HIP_vector_typeIfLj2EEffffjfiS5_IjLj3EEiiiiiiiiiiiliiliiiiil.has_indirect_call, or(0, .L_ZL14no_device_codePKciS0_iS0_.has_indirect_call)
	.section	.AMDGPU.csdata,"",@progbits
; Kernel info:
; codeLenInByte = 48
; TotalNumSgprs: 36
; NumVgprs: 40
; ScratchSize: 16
; MemoryBound: 0
; FloatMode: 240
; IeeeMode: 1
; LDSByteSize: 0 bytes/workgroup (compile time only)
; SGPRBlocks: 0
; VGPRBlocks: 4
; NumSGPRsForWavesPerEU: 36
; NumVGPRsForWavesPerEU: 40
; Occupancy: 16
; WaveLimiterHint : 1
; COMPUTE_PGM_RSRC2:SCRATCH_EN: 1
; COMPUTE_PGM_RSRC2:USER_SGPR: 6
; COMPUTE_PGM_RSRC2:TRAP_HANDLER: 0
; COMPUTE_PGM_RSRC2:TGID_X_EN: 1
; COMPUTE_PGM_RSRC2:TGID_Y_EN: 0
; COMPUTE_PGM_RSRC2:TGID_Z_EN: 0
; COMPUTE_PGM_RSRC2:TIDIG_COMP_CNT: 0
	.section	.text._ZL18flash_attn_ext_f16ILi128ELi128ELi8ELi1ELb1ELb0EEvPKcS1_S1_S1_S1_PKiPfP15HIP_vector_typeIfLj2EEffffjfiS5_IjLj3EEiiiiiiiiiiiliiliiiiil,"axG",@progbits,_ZL18flash_attn_ext_f16ILi128ELi128ELi8ELi1ELb1ELb0EEvPKcS1_S1_S1_S1_PKiPfP15HIP_vector_typeIfLj2EEffffjfiS5_IjLj3EEiiiiiiiiiiiliiliiiiil,comdat
	.globl	_ZL18flash_attn_ext_f16ILi128ELi128ELi8ELi1ELb1ELb0EEvPKcS1_S1_S1_S1_PKiPfP15HIP_vector_typeIfLj2EEffffjfiS5_IjLj3EEiiiiiiiiiiiliiliiiiil ; -- Begin function _ZL18flash_attn_ext_f16ILi128ELi128ELi8ELi1ELb1ELb0EEvPKcS1_S1_S1_S1_PKiPfP15HIP_vector_typeIfLj2EEffffjfiS5_IjLj3EEiiiiiiiiiiiliiliiiiil
	.p2align	8
	.type	_ZL18flash_attn_ext_f16ILi128ELi128ELi8ELi1ELb1ELb0EEvPKcS1_S1_S1_S1_PKiPfP15HIP_vector_typeIfLj2EEffffjfiS5_IjLj3EEiiiiiiiiiiiliiliiiiil,@function
_ZL18flash_attn_ext_f16ILi128ELi128ELi8ELi1ELb1ELb0EEvPKcS1_S1_S1_S1_PKiPfP15HIP_vector_typeIfLj2EEffffjfiS5_IjLj3EEiiiiiiiiiiiliiliiiiil: ; @_ZL18flash_attn_ext_f16ILi128ELi128ELi8ELi1ELb1ELb0EEvPKcS1_S1_S1_S1_PKiPfP15HIP_vector_typeIfLj2EEffffjfiS5_IjLj3EEiiiiiiiiiiiliiliiiiil
; %bb.0:
	s_add_u32 s0, s0, s7
	s_addc_u32 s1, s1, 0
	s_add_u32 s8, s4, 0xd0
	s_addc_u32 s9, s5, 0
	s_getpc_b64 s[4:5]
	s_add_u32 s4, s4, _ZL14no_device_codePKciS0_iS0_@rel32@lo+4
	s_addc_u32 s5, s5, _ZL14no_device_codePKciS0_iS0_@rel32@hi+12
	s_mov_b32 s32, 0
	s_swappc_b64 s[30:31], s[4:5]
	.section	.rodata,"a",@progbits
	.p2align	6, 0x0
	.amdhsa_kernel _ZL18flash_attn_ext_f16ILi128ELi128ELi8ELi1ELb1ELb0EEvPKcS1_S1_S1_S1_PKiPfP15HIP_vector_typeIfLj2EEffffjfiS5_IjLj3EEiiiiiiiiiiiliiliiiiil
		.amdhsa_group_segment_fixed_size 0
		.amdhsa_private_segment_fixed_size 16
		.amdhsa_kernarg_size 464
		.amdhsa_user_sgpr_count 6
		.amdhsa_user_sgpr_private_segment_buffer 1
		.amdhsa_user_sgpr_dispatch_ptr 0
		.amdhsa_user_sgpr_queue_ptr 0
		.amdhsa_user_sgpr_kernarg_segment_ptr 1
		.amdhsa_user_sgpr_dispatch_id 0
		.amdhsa_user_sgpr_flat_scratch_init 0
		.amdhsa_user_sgpr_private_segment_size 0
		.amdhsa_wavefront_size32 1
		.amdhsa_uses_dynamic_stack 0
		.amdhsa_system_sgpr_private_segment_wavefront_offset 1
		.amdhsa_system_sgpr_workgroup_id_x 1
		.amdhsa_system_sgpr_workgroup_id_y 0
		.amdhsa_system_sgpr_workgroup_id_z 0
		.amdhsa_system_sgpr_workgroup_info 0
		.amdhsa_system_vgpr_workitem_id 0
		.amdhsa_next_free_vgpr 40
		.amdhsa_next_free_sgpr 34
		.amdhsa_reserve_vcc 1
		.amdhsa_reserve_flat_scratch 0
		.amdhsa_float_round_mode_32 0
		.amdhsa_float_round_mode_16_64 0
		.amdhsa_float_denorm_mode_32 3
		.amdhsa_float_denorm_mode_16_64 3
		.amdhsa_dx10_clamp 1
		.amdhsa_ieee_mode 1
		.amdhsa_fp16_overflow 0
		.amdhsa_workgroup_processor_mode 1
		.amdhsa_memory_ordered 1
		.amdhsa_forward_progress 1
		.amdhsa_shared_vgpr_count 0
		.amdhsa_exception_fp_ieee_invalid_op 0
		.amdhsa_exception_fp_denorm_src 0
		.amdhsa_exception_fp_ieee_div_zero 0
		.amdhsa_exception_fp_ieee_overflow 0
		.amdhsa_exception_fp_ieee_underflow 0
		.amdhsa_exception_fp_ieee_inexact 0
		.amdhsa_exception_int_div_zero 0
	.end_amdhsa_kernel
	.section	.text._ZL18flash_attn_ext_f16ILi128ELi128ELi8ELi1ELb1ELb0EEvPKcS1_S1_S1_S1_PKiPfP15HIP_vector_typeIfLj2EEffffjfiS5_IjLj3EEiiiiiiiiiiiliiliiiiil,"axG",@progbits,_ZL18flash_attn_ext_f16ILi128ELi128ELi8ELi1ELb1ELb0EEvPKcS1_S1_S1_S1_PKiPfP15HIP_vector_typeIfLj2EEffffjfiS5_IjLj3EEiiiiiiiiiiiliiliiiiil,comdat
.Lfunc_end25:
	.size	_ZL18flash_attn_ext_f16ILi128ELi128ELi8ELi1ELb1ELb0EEvPKcS1_S1_S1_S1_PKiPfP15HIP_vector_typeIfLj2EEffffjfiS5_IjLj3EEiiiiiiiiiiiliiliiiiil, .Lfunc_end25-_ZL18flash_attn_ext_f16ILi128ELi128ELi8ELi1ELb1ELb0EEvPKcS1_S1_S1_S1_PKiPfP15HIP_vector_typeIfLj2EEffffjfiS5_IjLj3EEiiiiiiiiiiiliiliiiiil
                                        ; -- End function
	.set _ZL18flash_attn_ext_f16ILi128ELi128ELi8ELi1ELb1ELb0EEvPKcS1_S1_S1_S1_PKiPfP15HIP_vector_typeIfLj2EEffffjfiS5_IjLj3EEiiiiiiiiiiiliiliiiiil.num_vgpr, max(0, .L_ZL14no_device_codePKciS0_iS0_.num_vgpr)
	.set _ZL18flash_attn_ext_f16ILi128ELi128ELi8ELi1ELb1ELb0EEvPKcS1_S1_S1_S1_PKiPfP15HIP_vector_typeIfLj2EEffffjfiS5_IjLj3EEiiiiiiiiiiiliiliiiiil.num_agpr, max(0, .L_ZL14no_device_codePKciS0_iS0_.num_agpr)
	.set _ZL18flash_attn_ext_f16ILi128ELi128ELi8ELi1ELb1ELb0EEvPKcS1_S1_S1_S1_PKiPfP15HIP_vector_typeIfLj2EEffffjfiS5_IjLj3EEiiiiiiiiiiiliiliiiiil.numbered_sgpr, max(33, .L_ZL14no_device_codePKciS0_iS0_.numbered_sgpr)
	.set _ZL18flash_attn_ext_f16ILi128ELi128ELi8ELi1ELb1ELb0EEvPKcS1_S1_S1_S1_PKiPfP15HIP_vector_typeIfLj2EEffffjfiS5_IjLj3EEiiiiiiiiiiiliiliiiiil.num_named_barrier, max(0, .L_ZL14no_device_codePKciS0_iS0_.num_named_barrier)
	.set _ZL18flash_attn_ext_f16ILi128ELi128ELi8ELi1ELb1ELb0EEvPKcS1_S1_S1_S1_PKiPfP15HIP_vector_typeIfLj2EEffffjfiS5_IjLj3EEiiiiiiiiiiiliiliiiiil.private_seg_size, 0+max(.L_ZL14no_device_codePKciS0_iS0_.private_seg_size)
	.set _ZL18flash_attn_ext_f16ILi128ELi128ELi8ELi1ELb1ELb0EEvPKcS1_S1_S1_S1_PKiPfP15HIP_vector_typeIfLj2EEffffjfiS5_IjLj3EEiiiiiiiiiiiliiliiiiil.uses_vcc, or(1, .L_ZL14no_device_codePKciS0_iS0_.uses_vcc)
	.set _ZL18flash_attn_ext_f16ILi128ELi128ELi8ELi1ELb1ELb0EEvPKcS1_S1_S1_S1_PKiPfP15HIP_vector_typeIfLj2EEffffjfiS5_IjLj3EEiiiiiiiiiiiliiliiiiil.uses_flat_scratch, or(0, .L_ZL14no_device_codePKciS0_iS0_.uses_flat_scratch)
	.set _ZL18flash_attn_ext_f16ILi128ELi128ELi8ELi1ELb1ELb0EEvPKcS1_S1_S1_S1_PKiPfP15HIP_vector_typeIfLj2EEffffjfiS5_IjLj3EEiiiiiiiiiiiliiliiiiil.has_dyn_sized_stack, or(0, .L_ZL14no_device_codePKciS0_iS0_.has_dyn_sized_stack)
	.set _ZL18flash_attn_ext_f16ILi128ELi128ELi8ELi1ELb1ELb0EEvPKcS1_S1_S1_S1_PKiPfP15HIP_vector_typeIfLj2EEffffjfiS5_IjLj3EEiiiiiiiiiiiliiliiiiil.has_recursion, or(0, .L_ZL14no_device_codePKciS0_iS0_.has_recursion)
	.set _ZL18flash_attn_ext_f16ILi128ELi128ELi8ELi1ELb1ELb0EEvPKcS1_S1_S1_S1_PKiPfP15HIP_vector_typeIfLj2EEffffjfiS5_IjLj3EEiiiiiiiiiiiliiliiiiil.has_indirect_call, or(0, .L_ZL14no_device_codePKciS0_iS0_.has_indirect_call)
	.section	.AMDGPU.csdata,"",@progbits
; Kernel info:
; codeLenInByte = 48
; TotalNumSgprs: 36
; NumVgprs: 40
; ScratchSize: 16
; MemoryBound: 0
; FloatMode: 240
; IeeeMode: 1
; LDSByteSize: 0 bytes/workgroup (compile time only)
; SGPRBlocks: 0
; VGPRBlocks: 4
; NumSGPRsForWavesPerEU: 36
; NumVGPRsForWavesPerEU: 40
; Occupancy: 16
; WaveLimiterHint : 1
; COMPUTE_PGM_RSRC2:SCRATCH_EN: 1
; COMPUTE_PGM_RSRC2:USER_SGPR: 6
; COMPUTE_PGM_RSRC2:TRAP_HANDLER: 0
; COMPUTE_PGM_RSRC2:TGID_X_EN: 1
; COMPUTE_PGM_RSRC2:TGID_Y_EN: 0
; COMPUTE_PGM_RSRC2:TGID_Z_EN: 0
; COMPUTE_PGM_RSRC2:TIDIG_COMP_CNT: 0
	.section	.text._ZL33flash_attn_stream_k_fixup_uniformILi128ELi8ELi1EEvPfPK15HIP_vector_typeIfLj2EEiiiiiiS1_IjLj3EES5_S5_,"axG",@progbits,_ZL33flash_attn_stream_k_fixup_uniformILi128ELi8ELi1EEvPfPK15HIP_vector_typeIfLj2EEiiiiiiS1_IjLj3EES5_S5_,comdat
	.globl	_ZL33flash_attn_stream_k_fixup_uniformILi128ELi8ELi1EEvPfPK15HIP_vector_typeIfLj2EEiiiiiiS1_IjLj3EES5_S5_ ; -- Begin function _ZL33flash_attn_stream_k_fixup_uniformILi128ELi8ELi1EEvPfPK15HIP_vector_typeIfLj2EEiiiiiiS1_IjLj3EES5_S5_
	.p2align	8
	.type	_ZL33flash_attn_stream_k_fixup_uniformILi128ELi8ELi1EEvPfPK15HIP_vector_typeIfLj2EEiiiiiiS1_IjLj3EES5_S5_,@function
_ZL33flash_attn_stream_k_fixup_uniformILi128ELi8ELi1EEvPfPK15HIP_vector_typeIfLj2EEiiiiiiS1_IjLj3EES5_S5_: ; @_ZL33flash_attn_stream_k_fixup_uniformILi128ELi8ELi1EEvPfPK15HIP_vector_typeIfLj2EEiiiiiiS1_IjLj3EES5_S5_
; %bb.0:
	s_clause 0x2
	s_load_dwordx8 s[12:19], s[4:5], 0x1c
	s_load_dwordx4 s[20:23], s[4:5], 0x3c
	s_load_dwordx2 s[10:11], s[4:5], 0x10
	s_waitcnt lgkmcnt(0)
	s_mul_hi_u32 s0, s15, s6
	s_add_i32 s0, s6, s0
	s_lshr_b32 s0, s0, s16
	s_mul_i32 s1, s0, s17
	s_sub_i32 s2, s6, s1
	s_mul_hi_u32 s1, s2, s18
	s_add_i32 s1, s2, s1
	s_lshr_b32 s1, s1, s19
	s_mul_i32 s3, s1, s20
	s_sub_i32 s2, s2, s3
	;; [unrolled: 5-line block ×3, first 2 shown]
	s_lshl_b32 s2, s15, 3
	s_add_i32 s2, s2, s7
	s_cmp_lt_i32 s2, s10
	s_cselect_b32 s2, -1, 0
	s_add_i32 s3, s9, s8
	s_cmp_lt_i32 s3, s13
	s_cselect_b32 s3, -1, 0
	s_and_b32 s2, s2, s3
	s_andn2_b32 vcc_lo, exec_lo, s2
	s_cbranch_vccnz .LBB26_6
; %bb.1:
	s_mul_i32 s0, s0, s10
	s_mul_i32 s10, s1, s13
	s_add_i32 s0, s0, s7
	s_mul_i32 s0, s0, s11
	s_add_i32 s13, s0, s8
	s_load_dwordx4 s[0:3], s[4:5], 0x0
	s_add_i32 s4, s13, s10
	s_mul_i32 s5, s11, s15
	s_add_i32 s4, s4, s9
	s_lshl_b32 s5, s5, 10
	s_lshl_b32 s4, s4, 7
	s_add_i32 s8, s7, s8
	s_add_i32 s5, s5, s4
	s_mul_i32 s4, s14, s6
	v_or_b32_e32 v1, s5, v0
	s_add_i32 s9, s4, s14
	v_ashrrev_i32_e32 v2, 31, v1
	v_lshlrev_b64 v[1:2], 2, v[1:2]
	s_waitcnt lgkmcnt(0)
	v_add_co_u32 v1, vcc_lo, s0, v1
	v_add_co_ci_u32_e64 v2, null, s1, v2, vcc_lo
	s_lshl_b32 s0, s9, 3
	s_add_i32 s0, s8, s0
	global_load_dword v5, v[1:2], off
	s_add_i32 s0, s0, -8
	s_ashr_i32 s1, s0, 31
	s_lshl_b64 s[0:1], s[0:1], 3
	s_add_u32 s0, s2, s0
	s_addc_u32 s1, s3, s1
	s_add_i32 s5, s9, -2
	s_load_dword s10, s[0:1], 0x4
	s_cmp_lt_i32 s5, s4
	s_cbranch_scc1 .LBB26_4
; %bb.2:
	s_lshl_b32 s16, s12, 5
	s_load_dword s11, s[0:1], 0x0
	s_ashr_i32 s17, s16, 31
	s_waitcnt lgkmcnt(0)
	v_mov_b32_e32 v6, s10
	s_lshl_b64 s[0:1], s[16:17], 2
	s_add_u32 s5, s2, s0
	s_addc_u32 s7, s3, s1
	s_add_i32 s6, s6, 1
	s_lshl_b32 s1, s8, 7
	s_mul_i32 s0, s14, s6
	s_lshl_b32 s6, s0, 10
	s_lshl_b32 s0, s0, 3
	s_add_i32 s1, s1, s6
	s_add_i32 s0, s8, s0
	v_or_b32_e32 v0, s1, v0
	s_lshl_b32 s1, s12, 3
	s_add_i32 s6, s9, -1
	s_add_i32 s0, s0, s1
	v_add_nc_u32_e32 v3, 0xfffff800, v0
	v_mov_b32_e32 v0, s11
	s_add_i32 s0, s0, -16
.LBB26_3:                               ; =>This Inner Loop Header: Depth=1
	v_ashrrev_i32_e32 v4, 31, v3
	s_ashr_i32 s1, s0, 31
	s_lshl_b64 s[8:9], s[0:1], 3
	s_add_u32 s8, s2, s8
	v_lshlrev_b64 v[7:8], 2, v[3:4]
	s_addc_u32 s9, s3, s9
	v_add_nc_u32_e32 v3, 0xfffffc00, v3
	s_add_i32 s6, s6, -1
	s_add_i32 s0, s0, -8
	s_cmp_le_i32 s6, s4
	v_add_co_u32 v7, vcc_lo, s5, v7
	v_add_co_ci_u32_e64 v8, null, s7, v8, vcc_lo
	s_load_dwordx2 s[8:9], s[8:9], 0x0
	global_load_dword v4, v[7:8], off
	v_max_f32_e32 v7, v0, v0
	s_waitcnt lgkmcnt(0)
	v_max_f32_e64 v8, s8, s8
	v_max_f32_e32 v7, v7, v8
	v_sub_f32_e32 v8, s8, v7
	v_sub_f32_e32 v0, v0, v7
	v_mul_f32_e32 v9, 0x3fb8aa3b, v8
	v_mul_f32_e32 v12, 0x3fb8aa3b, v0
	v_cmp_ngt_f32_e32 vcc_lo, 0xc2ce8ed0, v8
	v_fma_f32 v10, 0x3fb8aa3b, v8, -v9
	v_rndne_f32_e32 v11, v9
	v_fma_f32 v13, 0x3fb8aa3b, v0, -v12
	v_rndne_f32_e32 v14, v12
	v_fmac_f32_e32 v10, 0x32a5705f, v8
	v_sub_f32_e32 v9, v9, v11
	v_fmac_f32_e32 v13, 0x32a5705f, v0
	v_cvt_i32_f32_e32 v11, v11
	v_add_f32_e32 v9, v9, v10
	v_sub_f32_e32 v10, v12, v14
	v_exp_f32_e32 v9, v9
	v_add_f32_e32 v10, v10, v13
	v_exp_f32_e32 v10, v10
	v_ldexp_f32 v9, v9, v11
	v_cvt_i32_f32_e32 v11, v14
	v_cndmask_b32_e32 v9, 0, v9, vcc_lo
	v_cmp_nlt_f32_e32 vcc_lo, 0x42b17218, v8
	v_ldexp_f32 v10, v10, v11
	v_mov_b32_e32 v11, v6
	v_cndmask_b32_e32 v9, 0x7f800000, v9, vcc_lo
	v_cmp_ngt_f32_e32 vcc_lo, 0xc2ce8ed0, v0
	v_cndmask_b32_e32 v10, 0, v10, vcc_lo
	v_cmp_le_f32_e32 vcc_lo, 0xc1a00000, v8
	v_cndmask_b32_e32 v8, 0, v9, vcc_lo
	v_cmp_nlt_f32_e32 vcc_lo, 0x42b17218, v0
	s_waitcnt vmcnt(1)
	v_mov_b32_e32 v9, v5
	v_cndmask_b32_e32 v5, 0x7f800000, v10, vcc_lo
	v_mul_f32_e32 v10, s9, v8
	v_cmp_le_f32_e32 vcc_lo, 0xc1a00000, v0
	v_mov_b32_e32 v0, v7
	v_mov_b32_e32 v6, v10
	v_cndmask_b32_e32 v12, 0, v5, vcc_lo
	v_fmac_f32_e32 v6, v11, v12
	s_waitcnt vmcnt(0)
	v_mul_f32_e32 v5, v4, v8
	v_fmac_f32_e32 v5, v9, v12
	s_cbranch_scc0 .LBB26_3
	s_branch .LBB26_5
.LBB26_4:
	s_waitcnt lgkmcnt(0)
	v_mov_b32_e32 v6, s10
.LBB26_5:
	s_waitcnt vmcnt(0)
	v_div_scale_f32 v0, null, v6, v6, v5
	v_rcp_f32_e32 v3, v0
	v_fma_f32 v4, -v0, v3, 1.0
	v_fmac_f32_e32 v3, v4, v3
	v_div_scale_f32 v4, vcc_lo, v5, v6, v5
	v_mul_f32_e32 v7, v4, v3
	v_fma_f32 v8, -v0, v7, v4
	v_fmac_f32_e32 v7, v8, v3
	v_fma_f32 v0, -v0, v7, v4
	v_div_fmas_f32 v0, v0, v3, v7
	v_div_fixup_f32 v0, v0, v6, v5
	global_store_dword v[1:2], v0, off
.LBB26_6:
	s_endpgm
	.section	.rodata,"a",@progbits
	.p2align	6, 0x0
	.amdhsa_kernel _ZL33flash_attn_stream_k_fixup_uniformILi128ELi8ELi1EEvPfPK15HIP_vector_typeIfLj2EEiiiiiiS1_IjLj3EES5_S5_
		.amdhsa_group_segment_fixed_size 0
		.amdhsa_private_segment_fixed_size 0
		.amdhsa_kernarg_size 76
		.amdhsa_user_sgpr_count 6
		.amdhsa_user_sgpr_private_segment_buffer 1
		.amdhsa_user_sgpr_dispatch_ptr 0
		.amdhsa_user_sgpr_queue_ptr 0
		.amdhsa_user_sgpr_kernarg_segment_ptr 1
		.amdhsa_user_sgpr_dispatch_id 0
		.amdhsa_user_sgpr_flat_scratch_init 0
		.amdhsa_user_sgpr_private_segment_size 0
		.amdhsa_wavefront_size32 1
		.amdhsa_uses_dynamic_stack 0
		.amdhsa_system_sgpr_private_segment_wavefront_offset 0
		.amdhsa_system_sgpr_workgroup_id_x 1
		.amdhsa_system_sgpr_workgroup_id_y 1
		.amdhsa_system_sgpr_workgroup_id_z 1
		.amdhsa_system_sgpr_workgroup_info 0
		.amdhsa_system_vgpr_workitem_id 0
		.amdhsa_next_free_vgpr 15
		.amdhsa_next_free_sgpr 24
		.amdhsa_reserve_vcc 1
		.amdhsa_reserve_flat_scratch 0
		.amdhsa_float_round_mode_32 0
		.amdhsa_float_round_mode_16_64 0
		.amdhsa_float_denorm_mode_32 3
		.amdhsa_float_denorm_mode_16_64 3
		.amdhsa_dx10_clamp 1
		.amdhsa_ieee_mode 1
		.amdhsa_fp16_overflow 0
		.amdhsa_workgroup_processor_mode 1
		.amdhsa_memory_ordered 1
		.amdhsa_forward_progress 1
		.amdhsa_shared_vgpr_count 0
		.amdhsa_exception_fp_ieee_invalid_op 0
		.amdhsa_exception_fp_denorm_src 0
		.amdhsa_exception_fp_ieee_div_zero 0
		.amdhsa_exception_fp_ieee_overflow 0
		.amdhsa_exception_fp_ieee_underflow 0
		.amdhsa_exception_fp_ieee_inexact 0
		.amdhsa_exception_int_div_zero 0
	.end_amdhsa_kernel
	.section	.text._ZL33flash_attn_stream_k_fixup_uniformILi128ELi8ELi1EEvPfPK15HIP_vector_typeIfLj2EEiiiiiiS1_IjLj3EES5_S5_,"axG",@progbits,_ZL33flash_attn_stream_k_fixup_uniformILi128ELi8ELi1EEvPfPK15HIP_vector_typeIfLj2EEiiiiiiS1_IjLj3EES5_S5_,comdat
.Lfunc_end26:
	.size	_ZL33flash_attn_stream_k_fixup_uniformILi128ELi8ELi1EEvPfPK15HIP_vector_typeIfLj2EEiiiiiiS1_IjLj3EES5_S5_, .Lfunc_end26-_ZL33flash_attn_stream_k_fixup_uniformILi128ELi8ELi1EEvPfPK15HIP_vector_typeIfLj2EEiiiiiiS1_IjLj3EES5_S5_
                                        ; -- End function
	.set _ZL33flash_attn_stream_k_fixup_uniformILi128ELi8ELi1EEvPfPK15HIP_vector_typeIfLj2EEiiiiiiS1_IjLj3EES5_S5_.num_vgpr, 15
	.set _ZL33flash_attn_stream_k_fixup_uniformILi128ELi8ELi1EEvPfPK15HIP_vector_typeIfLj2EEiiiiiiS1_IjLj3EES5_S5_.num_agpr, 0
	.set _ZL33flash_attn_stream_k_fixup_uniformILi128ELi8ELi1EEvPfPK15HIP_vector_typeIfLj2EEiiiiiiS1_IjLj3EES5_S5_.numbered_sgpr, 24
	.set _ZL33flash_attn_stream_k_fixup_uniformILi128ELi8ELi1EEvPfPK15HIP_vector_typeIfLj2EEiiiiiiS1_IjLj3EES5_S5_.num_named_barrier, 0
	.set _ZL33flash_attn_stream_k_fixup_uniformILi128ELi8ELi1EEvPfPK15HIP_vector_typeIfLj2EEiiiiiiS1_IjLj3EES5_S5_.private_seg_size, 0
	.set _ZL33flash_attn_stream_k_fixup_uniformILi128ELi8ELi1EEvPfPK15HIP_vector_typeIfLj2EEiiiiiiS1_IjLj3EES5_S5_.uses_vcc, 1
	.set _ZL33flash_attn_stream_k_fixup_uniformILi128ELi8ELi1EEvPfPK15HIP_vector_typeIfLj2EEiiiiiiS1_IjLj3EES5_S5_.uses_flat_scratch, 0
	.set _ZL33flash_attn_stream_k_fixup_uniformILi128ELi8ELi1EEvPfPK15HIP_vector_typeIfLj2EEiiiiiiS1_IjLj3EES5_S5_.has_dyn_sized_stack, 0
	.set _ZL33flash_attn_stream_k_fixup_uniformILi128ELi8ELi1EEvPfPK15HIP_vector_typeIfLj2EEiiiiiiS1_IjLj3EES5_S5_.has_recursion, 0
	.set _ZL33flash_attn_stream_k_fixup_uniformILi128ELi8ELi1EEvPfPK15HIP_vector_typeIfLj2EEiiiiiiS1_IjLj3EES5_S5_.has_indirect_call, 0
	.section	.AMDGPU.csdata,"",@progbits
; Kernel info:
; codeLenInByte = 828
; TotalNumSgprs: 26
; NumVgprs: 15
; ScratchSize: 0
; MemoryBound: 0
; FloatMode: 240
; IeeeMode: 1
; LDSByteSize: 0 bytes/workgroup (compile time only)
; SGPRBlocks: 0
; VGPRBlocks: 1
; NumSGPRsForWavesPerEU: 26
; NumVGPRsForWavesPerEU: 15
; Occupancy: 16
; WaveLimiterHint : 0
; COMPUTE_PGM_RSRC2:SCRATCH_EN: 0
; COMPUTE_PGM_RSRC2:USER_SGPR: 6
; COMPUTE_PGM_RSRC2:TRAP_HANDLER: 0
; COMPUTE_PGM_RSRC2:TGID_X_EN: 1
; COMPUTE_PGM_RSRC2:TGID_Y_EN: 1
; COMPUTE_PGM_RSRC2:TGID_Z_EN: 1
; COMPUTE_PGM_RSRC2:TIDIG_COMP_CNT: 0
	.section	.text._ZL33flash_attn_stream_k_fixup_generalILi128ELi8ELi1EEvPfPK15HIP_vector_typeIfLj2EEiiiiS1_IjLj3EES5_S5_S5_,"axG",@progbits,_ZL33flash_attn_stream_k_fixup_generalILi128ELi8ELi1EEvPfPK15HIP_vector_typeIfLj2EEiiiiS1_IjLj3EES5_S5_S5_,comdat
	.globl	_ZL33flash_attn_stream_k_fixup_generalILi128ELi8ELi1EEvPfPK15HIP_vector_typeIfLj2EEiiiiS1_IjLj3EES5_S5_S5_ ; -- Begin function _ZL33flash_attn_stream_k_fixup_generalILi128ELi8ELi1EEvPfPK15HIP_vector_typeIfLj2EEiiiiS1_IjLj3EES5_S5_S5_
	.p2align	8
	.type	_ZL33flash_attn_stream_k_fixup_generalILi128ELi8ELi1EEvPfPK15HIP_vector_typeIfLj2EEiiiiS1_IjLj3EES5_S5_S5_,@function
_ZL33flash_attn_stream_k_fixup_generalILi128ELi8ELi1EEvPfPK15HIP_vector_typeIfLj2EEiiiiS1_IjLj3EES5_S5_S5_: ; @_ZL33flash_attn_stream_k_fixup_generalILi128ELi8ELi1EEvPfPK15HIP_vector_typeIfLj2EEiiiiS1_IjLj3EES5_S5_S5_
; %bb.0:
	s_clause 0x1
	s_load_dwordx4 s[0:3], s[4:5], 0x10
	s_load_dword s9, s[4:5], 0x50
	s_mov_b32 s16, 0
	s_waitcnt lgkmcnt(0)
	s_mul_hi_i32 s17, s3, s6
	s_mul_i32 s18, s3, s6
	s_cmp_lg_u64 s[16:17], 0
	s_cbranch_scc0 .LBB27_21
; %bb.1:
	s_add_u32 s10, s9, 0
	s_addc_u32 s11, 0, 0
	s_xor_b64 s[10:11], s[10:11], 0
	v_cvt_f32_u32_e32 v1, s10
	v_cvt_f32_u32_e32 v2, s11
	s_sub_u32 s14, 0, s10
	s_subb_u32 s15, 0, s11
	v_fmamk_f32 v1, v2, 0x4f800000, v1
	v_rcp_f32_e32 v1, v1
	v_mul_f32_e32 v1, 0x5f7ffffc, v1
	v_mul_f32_e32 v2, 0x2f800000, v1
	v_trunc_f32_e32 v2, v2
	v_fmamk_f32 v1, v2, 0xcf800000, v1
	v_cvt_u32_f32_e32 v2, v2
	v_cvt_u32_f32_e32 v1, v1
	v_readfirstlane_b32 s12, v2
	v_readfirstlane_b32 s13, v1
	s_mul_i32 s19, s14, s12
	s_mul_hi_u32 s21, s14, s13
	s_mul_i32 s20, s15, s13
	s_add_i32 s19, s21, s19
	s_mul_i32 s22, s14, s13
	s_add_i32 s19, s19, s20
	s_mul_hi_u32 s21, s13, s22
	s_mul_i32 s24, s13, s19
	s_mul_hi_u32 s23, s12, s22
	s_mul_i32 s20, s12, s22
	s_mul_hi_u32 s22, s13, s19
	s_add_u32 s21, s21, s24
	s_addc_u32 s22, 0, s22
	s_mul_hi_u32 s25, s12, s19
	s_add_u32 s20, s21, s20
	s_mul_i32 s19, s12, s19
	s_addc_u32 s20, s22, s23
	s_addc_u32 s21, s25, 0
	s_add_u32 s19, s20, s19
	s_addc_u32 s20, 0, s21
	s_add_u32 s13, s13, s19
	s_cselect_b32 s19, -1, 0
	s_mul_hi_u32 s21, s14, s13
	s_cmp_lg_u32 s19, 0
	s_mul_i32 s19, s14, s13
	s_addc_u32 s12, s12, s20
	s_mul_i32 s15, s15, s13
	s_mul_i32 s14, s14, s12
	s_mul_hi_u32 s20, s13, s19
	s_add_i32 s14, s21, s14
	s_mul_hi_u32 s21, s12, s19
	s_add_i32 s14, s14, s15
	s_mul_i32 s15, s12, s19
	s_mul_i32 s23, s13, s14
	s_mul_hi_u32 s22, s13, s14
	s_add_u32 s20, s20, s23
	s_addc_u32 s22, 0, s22
	s_mul_hi_u32 s19, s12, s14
	s_add_u32 s15, s20, s15
	s_mul_i32 s14, s12, s14
	s_addc_u32 s15, s22, s21
	s_addc_u32 s19, s19, 0
	s_add_u32 s14, s15, s14
	s_addc_u32 s15, 0, s19
	s_add_u32 s19, s13, s14
	s_cselect_b32 s13, -1, 0
	s_cmp_lg_u32 s13, 0
	s_addc_u32 s20, s12, s15
	s_ashr_i32 s12, s17, 31
	s_add_u32 s14, s18, s12
	s_mov_b32 s13, s12
	s_addc_u32 s15, s17, s12
	s_xor_b64 s[14:15], s[14:15], s[12:13]
	s_mul_i32 s21, s14, s20
	s_mul_hi_u32 s22, s14, s19
	s_mul_hi_u32 s17, s14, s20
	;; [unrolled: 1-line block ×3, first 2 shown]
	s_mul_i32 s19, s15, s19
	s_add_u32 s21, s22, s21
	s_addc_u32 s17, 0, s17
	s_mul_hi_u32 s23, s15, s20
	s_add_u32 s19, s21, s19
	s_mul_i32 s20, s15, s20
	s_addc_u32 s17, s17, s24
	s_addc_u32 s19, s23, 0
	s_add_u32 s17, s17, s20
	s_addc_u32 s19, 0, s19
	s_mul_hi_u32 s20, s10, s17
	s_mul_i32 s21, s10, s19
	s_mul_i32 s22, s11, s17
	s_add_i32 s20, s20, s21
	s_mul_i32 s21, s10, s17
	s_add_i32 s20, s20, s22
	s_sub_i32 s22, s15, s20
	s_sub_u32 s14, s14, s21
	s_cselect_b32 s21, -1, 0
	s_cmp_lg_u32 s21, 0
	s_subb_u32 s22, s22, s11
	s_sub_u32 s23, s14, s10
	s_cselect_b32 s24, -1, 0
	s_cmp_lg_u32 s24, 0
	s_subb_u32 s22, s22, 0
	s_cmp_ge_u32 s22, s11
	s_cselect_b32 s24, -1, 0
	s_cmp_ge_u32 s23, s10
	s_cselect_b32 s23, -1, 0
	s_cmp_eq_u32 s22, s11
	s_cselect_b32 s22, s23, s24
	s_add_u32 s23, s17, 1
	s_addc_u32 s24, s19, 0
	s_add_u32 s25, s17, 2
	s_addc_u32 s26, s19, 0
	s_cmp_lg_u32 s22, 0
	s_cselect_b32 s22, s25, s23
	s_cselect_b32 s23, s26, s24
	s_cmp_lg_u32 s21, 0
	s_subb_u32 s15, s15, s20
	s_cmp_ge_u32 s15, s11
	s_cselect_b32 s20, -1, 0
	s_cmp_ge_u32 s14, s10
	s_cselect_b32 s10, -1, 0
	s_cmp_eq_u32 s15, s11
	s_cselect_b32 s10, s10, s20
	s_cmp_lg_u32 s10, 0
	s_cselect_b32 s11, s23, s19
	s_cselect_b32 s10, s22, s17
	s_xor_b64 s[12:13], s[12:13], 0
	s_xor_b64 s[10:11], s[10:11], s[12:13]
	s_sub_u32 s10, s10, s12
	s_load_dwordx4 s[12:15], s[4:5], 0x44
	s_andn2_b32 vcc_lo, exec_lo, s16
	s_cbranch_vccnz .LBB27_3
.LBB27_2:
	v_cvt_f32_u32_e32 v1, s9
	s_sub_i32 s11, 0, s9
	v_rcp_iflag_f32_e32 v1, v1
	v_mul_f32_e32 v1, 0x4f7ffffe, v1
	v_cvt_u32_f32_e32 v1, v1
	v_readfirstlane_b32 s10, v1
	s_mul_i32 s11, s11, s10
	s_mul_hi_u32 s11, s10, s11
	s_add_i32 s10, s10, s11
	s_mul_hi_u32 s10, s18, s10
	s_mul_i32 s11, s10, s9
	s_waitcnt lgkmcnt(0)
	s_add_i32 s15, s10, 1
	s_sub_i32 s11, s18, s11
	s_sub_i32 s16, s11, s9
	s_cmp_ge_u32 s11, s9
	s_cselect_b32 s10, s15, s10
	s_cselect_b32 s11, s16, s11
	s_add_i32 s15, s10, 1
	s_cmp_ge_u32 s11, s9
	s_cselect_b32 s10, s15, s10
.LBB27_3:
	s_add_i32 s11, s6, 1
	s_mov_b32 s16, 0
	s_mul_hi_i32 s17, s3, s11
	s_mul_i32 s11, s3, s11
	s_cmp_lg_u64 s[16:17], 0
	s_cbranch_scc0 .LBB27_22
; %bb.4:
	s_add_u32 s18, s9, 0
	s_addc_u32 s19, 0, 0
	s_xor_b64 s[18:19], s[18:19], 0
	v_cvt_f32_u32_e32 v1, s18
	v_cvt_f32_u32_e32 v2, s19
	s_sub_u32 s21, 0, s18
	s_subb_u32 s22, 0, s19
	v_fmamk_f32 v1, v2, 0x4f800000, v1
	v_rcp_f32_e32 v1, v1
	v_mul_f32_e32 v1, 0x5f7ffffc, v1
	v_mul_f32_e32 v2, 0x2f800000, v1
	v_trunc_f32_e32 v2, v2
	v_fmamk_f32 v1, v2, 0xcf800000, v1
	v_cvt_u32_f32_e32 v2, v2
	v_cvt_u32_f32_e32 v1, v1
	s_waitcnt lgkmcnt(0)
	v_readfirstlane_b32 s15, v2
	v_readfirstlane_b32 s20, v1
	s_mul_i32 s23, s21, s15
	s_mul_hi_u32 s25, s21, s20
	s_mul_i32 s24, s22, s20
	s_add_i32 s23, s25, s23
	s_mul_i32 s26, s21, s20
	s_add_i32 s23, s23, s24
	s_mul_hi_u32 s25, s20, s26
	s_mul_i32 s28, s20, s23
	s_mul_hi_u32 s27, s15, s26
	s_mul_i32 s24, s15, s26
	s_mul_hi_u32 s26, s20, s23
	s_add_u32 s25, s25, s28
	s_addc_u32 s26, 0, s26
	s_mul_hi_u32 s29, s15, s23
	s_add_u32 s24, s25, s24
	s_mul_i32 s23, s15, s23
	s_addc_u32 s24, s26, s27
	s_addc_u32 s25, s29, 0
	s_add_u32 s23, s24, s23
	s_addc_u32 s24, 0, s25
	s_add_u32 s20, s20, s23
	s_cselect_b32 s23, -1, 0
	s_mul_hi_u32 s25, s21, s20
	s_cmp_lg_u32 s23, 0
	s_mul_i32 s23, s21, s20
	s_addc_u32 s15, s15, s24
	s_mul_i32 s22, s22, s20
	s_mul_i32 s21, s21, s15
	s_mul_hi_u32 s24, s20, s23
	s_add_i32 s21, s25, s21
	s_mul_hi_u32 s25, s15, s23
	s_add_i32 s21, s21, s22
	s_mul_i32 s22, s15, s23
	s_mul_i32 s27, s20, s21
	s_mul_hi_u32 s26, s20, s21
	s_add_u32 s24, s24, s27
	s_addc_u32 s26, 0, s26
	s_mul_hi_u32 s23, s15, s21
	s_add_u32 s22, s24, s22
	s_mul_i32 s21, s15, s21
	s_addc_u32 s22, s26, s25
	s_addc_u32 s23, s23, 0
	s_add_u32 s21, s22, s21
	s_addc_u32 s22, 0, s23
	s_add_u32 s24, s20, s21
	s_cselect_b32 s20, -1, 0
	s_cmp_lg_u32 s20, 0
	s_addc_u32 s15, s15, s22
	s_ashr_i32 s20, s17, 31
	s_add_u32 s22, s11, s20
	s_mov_b32 s21, s20
	s_addc_u32 s23, s17, s20
	s_xor_b64 s[22:23], s[22:23], s[20:21]
	s_mul_i32 s25, s22, s15
	s_mul_hi_u32 s26, s22, s24
	s_mul_hi_u32 s17, s22, s15
	;; [unrolled: 1-line block ×3, first 2 shown]
	s_mul_i32 s24, s23, s24
	s_add_u32 s25, s26, s25
	s_addc_u32 s17, 0, s17
	s_mul_hi_u32 s27, s23, s15
	s_add_u32 s24, s25, s24
	s_mul_i32 s15, s23, s15
	s_addc_u32 s17, s17, s28
	s_addc_u32 s24, s27, 0
	s_add_u32 s15, s17, s15
	s_addc_u32 s17, 0, s24
	s_mul_hi_u32 s24, s18, s15
	s_mul_i32 s25, s18, s17
	s_mul_i32 s26, s19, s15
	s_add_i32 s24, s24, s25
	s_mul_i32 s25, s18, s15
	s_add_i32 s24, s24, s26
	s_sub_i32 s26, s23, s24
	s_sub_u32 s22, s22, s25
	s_cselect_b32 s25, -1, 0
	s_cmp_lg_u32 s25, 0
	s_subb_u32 s26, s26, s19
	s_sub_u32 s27, s22, s18
	s_cselect_b32 s28, -1, 0
	s_cmp_lg_u32 s28, 0
	s_subb_u32 s26, s26, 0
	s_cmp_ge_u32 s26, s19
	s_cselect_b32 s28, -1, 0
	s_cmp_ge_u32 s27, s18
	s_cselect_b32 s27, -1, 0
	s_cmp_eq_u32 s26, s19
	s_cselect_b32 s26, s27, s28
	s_add_u32 s27, s15, 1
	s_addc_u32 s28, s17, 0
	s_add_u32 s29, s15, 2
	s_addc_u32 s30, s17, 0
	s_cmp_lg_u32 s26, 0
	s_cselect_b32 s26, s29, s27
	s_cselect_b32 s27, s30, s28
	s_cmp_lg_u32 s25, 0
	s_subb_u32 s23, s23, s24
	s_cmp_ge_u32 s23, s19
	s_cselect_b32 s24, -1, 0
	s_cmp_ge_u32 s22, s18
	s_cselect_b32 s18, -1, 0
	s_cmp_eq_u32 s23, s19
	s_cselect_b32 s18, s18, s24
	s_cmp_lg_u32 s18, 0
	s_cselect_b32 s19, s27, s17
	s_cselect_b32 s18, s26, s15
	s_xor_b64 s[20:21], s[20:21], 0
	s_xor_b64 s[18:19], s[18:19], s[20:21]
	s_sub_u32 s18, s18, s20
	s_andn2_b32 vcc_lo, exec_lo, s16
	s_cbranch_vccnz .LBB27_6
.LBB27_5:
	v_cvt_f32_u32_e32 v1, s9
	s_sub_i32 s16, 0, s9
	v_rcp_iflag_f32_e32 v1, v1
	v_mul_f32_e32 v1, 0x4f7ffffe, v1
	v_cvt_u32_f32_e32 v1, v1
	s_waitcnt lgkmcnt(0)
	v_readfirstlane_b32 s15, v1
	s_mul_i32 s16, s16, s15
	s_mul_hi_u32 s16, s15, s16
	s_add_i32 s15, s15, s16
	s_mul_hi_u32 s15, s11, s15
	s_mul_i32 s16, s15, s9
	s_sub_i32 s11, s11, s16
	s_add_i32 s16, s15, 1
	s_sub_i32 s17, s11, s9
	s_cmp_ge_u32 s11, s9
	s_cselect_b32 s15, s16, s15
	s_cselect_b32 s11, s17, s11
	s_add_i32 s16, s15, 1
	s_cmp_ge_u32 s11, s9
	s_cselect_b32 s18, s16, s15
.LBB27_6:
	s_cmp_eq_u32 s10, s18
	s_waitcnt lgkmcnt(0)
	s_mul_hi_u32 s11, s10, s12
	s_cselect_b32 s15, -1, 0
	s_add_i32 s11, s11, s10
	s_lshr_b32 s11, s11, s13
	s_mul_i32 s16, s11, s14
	s_cmp_eq_u32 s16, s10
	s_mul_hi_u32 s16, s18, s12
	s_cselect_b32 s17, -1, 0
	s_add_i32 s16, s16, s18
	s_lshr_b32 s16, s16, s13
	s_cmp_eq_u32 s11, s16
	s_mul_i32 s16, s16, s14
	s_cselect_b32 s19, -1, 0
	s_cmp_lg_u32 s16, s18
	s_cselect_b32 s16, -1, 0
	s_or_b32 s15, s15, s17
	s_and_b32 s16, s19, s16
	s_or_b32 s15, s15, s16
	s_and_b32 vcc_lo, exec_lo, s15
	s_cbranch_vccnz .LBB27_24
; %bb.7:
	s_load_dwordx8 s[20:27], s[4:5], 0x20
	s_waitcnt lgkmcnt(0)
	s_mul_hi_u32 s15, s10, s20
	s_add_i32 s15, s15, s10
	s_lshr_b32 s20, s15, s21
	s_load_dword s15, s[4:5], 0x40
	s_mul_i32 s16, s20, s22
	s_sub_i32 s16, s10, s16
	s_mul_hi_u32 s17, s16, s23
	s_add_i32 s17, s16, s17
	s_lshr_b32 s22, s17, s24
	s_mul_i32 s17, s22, s25
	s_sub_i32 s16, s16, s17
	s_mul_hi_u32 s17, s16, s26
	s_add_i32 s17, s16, s17
	s_lshr_b32 s23, s17, s27
	s_waitcnt lgkmcnt(0)
	s_mul_i32 s15, s23, s15
	s_sub_i32 s15, s16, s15
	s_mul_hi_u32 s16, s15, s12
	s_add_i32 s15, s15, s16
	s_lshr_b32 s24, s15, s13
	s_lshl_b32 s15, s24, 3
	s_add_i32 s15, s15, s7
	s_cmp_lt_i32 s15, s0
	s_cselect_b32 s15, -1, 0
	s_add_i32 s16, s23, s8
	s_cmp_lt_i32 s16, s2
	s_cselect_b32 s16, -1, 0
	s_and_b32 s15, s15, s16
	s_andn2_b32 vcc_lo, exec_lo, s15
	s_cbranch_vccnz .LBB27_24
; %bb.8:
	s_load_dwordx4 s[16:19], s[4:5], 0x0
	s_mov_b32 s4, 0
	s_lshl_b32 s26, s9, 5
	s_mov_b32 s27, s4
	s_add_i32 s15, s7, s8
	s_lshl_b64 s[26:27], s[26:27], 2
	s_mul_i32 s0, s20, s0
	s_mul_i32 s22, s22, s2
	v_cvt_f32_u32_e32 v4, s9
	v_rcp_iflag_f32_e32 v4, v4
	s_waitcnt lgkmcnt(0)
	s_add_u32 s20, s18, s26
	s_addc_u32 s21, s19, s27
	s_add_i32 s0, s0, s7
	v_mul_f32_e32 v4, 0x4f7ffffe, v4
	s_mul_i32 s0, s0, s1
	s_mul_i32 s1, s1, s24
	s_add_i32 s0, s0, s8
	s_lshl_b32 s1, s1, 10
	s_add_i32 s0, s0, s22
	v_cvt_u32_f32_e32 v4, v4
	s_add_i32 s0, s0, s23
	s_lshl_b32 s0, s0, 7
	s_add_i32 s1, s1, s0
	s_lshl_b32 s0, s6, 3
	v_or_b32_e32 v1, s1, v0
	s_add_i32 s0, s0, s15
	v_lshl_or_b32 v0, s15, 7, v0
	s_ashr_i32 s1, s0, 31
	v_ashrrev_i32_e32 v2, 31, v1
	s_lshl_b64 s[0:1], s[0:1], 3
	s_add_u32 s0, s18, s0
	s_addc_u32 s1, s19, s1
	v_lshlrev_b64 v[1:2], 2, v[1:2]
	s_load_dwordx2 s[0:1], s[0:1], 0x0
	s_add_i32 s8, s6, -1
	s_sub_i32 s2, 0, s9
	v_add_co_u32 v1, vcc_lo, s16, v1
	v_add_co_ci_u32_e64 v2, null, s17, v2, vcc_lo
	global_load_dword v3, v[1:2], off
	s_waitcnt lgkmcnt(0)
	v_mov_b32_e32 v5, s1
	v_mov_b32_e32 v6, s0
.LBB27_9:                               ; =>This Inner Loop Header: Depth=1
	s_mul_hi_i32 s5, s8, s3
	s_mul_i32 s6, s8, s3
	s_cmp_lg_u64 s[4:5], 0
	s_mov_b32 s7, -1
                                        ; implicit-def: $sgpr0_sgpr1
	s_cbranch_scc0 .LBB27_11
; %bb.10:                               ;   in Loop: Header=BB27_9 Depth=1
	s_add_u32 s0, s9, 0
	s_addc_u32 s1, 0, 0
	s_xor_b64 s[0:1], s[0:1], 0
	v_cvt_f32_u32_e32 v7, s0
	v_cvt_f32_u32_e32 v8, s1
	s_sub_u32 s17, 0, s0
	s_subb_u32 s22, 0, s1
	v_fmac_f32_e32 v7, 0x4f800000, v8
	v_rcp_f32_e32 v7, v7
	v_mul_f32_e32 v7, 0x5f7ffffc, v7
	v_mul_f32_e32 v8, 0x2f800000, v7
	v_trunc_f32_e32 v8, v8
	v_fmac_f32_e32 v7, 0xcf800000, v8
	v_cvt_u32_f32_e32 v8, v8
	v_cvt_u32_f32_e32 v7, v7
	v_readfirstlane_b32 s7, v8
	v_readfirstlane_b32 s16, v7
	s_mul_i32 s23, s17, s7
	s_mul_hi_u32 s25, s17, s16
	s_mul_i32 s24, s22, s16
	s_add_i32 s23, s25, s23
	s_mul_i32 s26, s17, s16
	s_add_i32 s23, s23, s24
	s_mul_hi_u32 s25, s16, s26
	s_mul_i32 s28, s16, s23
	s_mul_hi_u32 s27, s7, s26
	s_mul_i32 s24, s7, s26
	s_mul_hi_u32 s26, s16, s23
	s_add_u32 s25, s25, s28
	s_addc_u32 s26, 0, s26
	s_mul_hi_u32 s29, s7, s23
	s_add_u32 s24, s25, s24
	s_mul_i32 s23, s7, s23
	s_addc_u32 s24, s26, s27
	s_addc_u32 s25, s29, 0
	s_add_u32 s23, s24, s23
	s_addc_u32 s24, 0, s25
	s_add_u32 s16, s16, s23
	s_cselect_b32 s23, -1, 0
	s_mul_hi_u32 s25, s17, s16
	s_cmp_lg_u32 s23, 0
	s_mul_i32 s23, s17, s16
	s_addc_u32 s7, s7, s24
	s_mul_i32 s22, s22, s16
	s_mul_i32 s17, s17, s7
	s_mul_hi_u32 s24, s16, s23
	s_add_i32 s17, s25, s17
	s_mul_hi_u32 s25, s7, s23
	s_add_i32 s17, s17, s22
	s_mul_i32 s22, s7, s23
	s_mul_i32 s27, s16, s17
	s_mul_hi_u32 s26, s16, s17
	s_add_u32 s24, s24, s27
	s_addc_u32 s26, 0, s26
	s_mul_hi_u32 s23, s7, s17
	s_add_u32 s22, s24, s22
	s_mul_i32 s17, s7, s17
	s_addc_u32 s22, s26, s25
	s_addc_u32 s23, s23, 0
	s_add_u32 s17, s22, s17
	s_addc_u32 s22, 0, s23
	s_add_u32 s24, s16, s17
	s_cselect_b32 s16, -1, 0
	s_cmp_lg_u32 s16, 0
	s_addc_u32 s7, s7, s22
	s_ashr_i32 s16, s5, 31
	s_add_u32 s22, s6, s16
	s_mov_b32 s17, s16
	s_addc_u32 s23, s5, s16
	s_xor_b64 s[22:23], s[22:23], s[16:17]
	s_mul_i32 s25, s22, s7
	s_mul_hi_u32 s26, s22, s24
	s_mul_hi_u32 s5, s22, s7
	;; [unrolled: 1-line block ×3, first 2 shown]
	s_mul_i32 s24, s23, s24
	s_add_u32 s25, s26, s25
	s_addc_u32 s5, 0, s5
	s_mul_hi_u32 s27, s23, s7
	s_add_u32 s24, s25, s24
	s_mul_i32 s7, s23, s7
	s_addc_u32 s5, s5, s28
	s_addc_u32 s24, s27, 0
	s_add_u32 s5, s5, s7
	s_addc_u32 s7, 0, s24
	s_mul_hi_u32 s24, s0, s5
	s_mul_i32 s25, s0, s7
	s_mul_i32 s26, s1, s5
	s_add_i32 s24, s24, s25
	s_mul_i32 s25, s0, s5
	s_add_i32 s24, s24, s26
	s_sub_i32 s26, s23, s24
	s_sub_u32 s22, s22, s25
	s_cselect_b32 s25, -1, 0
	s_cmp_lg_u32 s25, 0
	s_subb_u32 s26, s26, s1
	s_sub_u32 s27, s22, s0
	s_cselect_b32 s28, -1, 0
	s_cmp_lg_u32 s28, 0
	s_subb_u32 s26, s26, 0
	s_cmp_ge_u32 s26, s1
	s_cselect_b32 s28, -1, 0
	s_cmp_ge_u32 s27, s0
	s_cselect_b32 s27, -1, 0
	s_cmp_eq_u32 s26, s1
	s_cselect_b32 s26, s27, s28
	s_add_u32 s27, s5, 1
	s_addc_u32 s28, s7, 0
	s_add_u32 s29, s5, 2
	s_addc_u32 s30, s7, 0
	s_cmp_lg_u32 s26, 0
	s_cselect_b32 s26, s29, s27
	s_cselect_b32 s27, s30, s28
	s_cmp_lg_u32 s25, 0
	s_subb_u32 s23, s23, s24
	s_cmp_ge_u32 s23, s1
	s_cselect_b32 s24, -1, 0
	s_cmp_ge_u32 s22, s0
	s_cselect_b32 s0, -1, 0
	s_cmp_eq_u32 s23, s1
	s_cselect_b32 s0, s0, s24
	s_cmp_lg_u32 s0, 0
	s_cselect_b32 s1, s27, s7
	s_cselect_b32 s0, s26, s5
	s_xor_b64 s[16:17], s[16:17], 0
	s_mov_b32 s7, 0
	s_xor_b64 s[0:1], s[0:1], s[16:17]
	s_sub_u32 s0, s0, s16
.LBB27_11:                              ;   in Loop: Header=BB27_9 Depth=1
	s_andn2_b32 vcc_lo, exec_lo, s7
	s_cbranch_vccnz .LBB27_13
; %bb.12:                               ;   in Loop: Header=BB27_9 Depth=1
	v_readfirstlane_b32 s0, v4
	s_mul_i32 s1, s2, s0
	s_mul_hi_u32 s1, s0, s1
	s_add_i32 s0, s0, s1
	s_mul_hi_u32 s0, s6, s0
	s_mul_i32 s1, s0, s9
	s_add_i32 s5, s0, 1
	s_sub_i32 s1, s6, s1
	s_sub_i32 s6, s1, s9
	s_cmp_ge_u32 s1, s9
	s_cselect_b32 s0, s5, s0
	s_cselect_b32 s1, s6, s1
	s_add_i32 s5, s0, 1
	s_cmp_ge_u32 s1, s9
	s_cselect_b32 s0, s5, s0
.LBB27_13:                              ;   in Loop: Header=BB27_9 Depth=1
	s_cmp_lg_u32 s10, s0
	s_mov_b32 s6, -1
                                        ; implicit-def: $sgpr5
                                        ; implicit-def: $vgpr8
                                        ; implicit-def: $vgpr7
                                        ; implicit-def: $vgpr9
                                        ; implicit-def: $sgpr1
                                        ; implicit-def: $sgpr16
	s_cbranch_scc0 .LBB27_18
; %bb.14:                               ;   in Loop: Header=BB27_9 Depth=1
	s_add_i32 s1, s8, s9
	s_mov_b32 s7, s4
	s_lshl_b32 s1, s1, 3
	s_mov_b32 s16, s10
	s_add_i32 s6, s1, s15
	s_mul_hi_u32 s1, s0, s12
	s_lshl_b64 s[6:7], s[6:7], 3
	s_add_u32 s6, s18, s6
	s_addc_u32 s7, s19, s7
	s_add_i32 s1, s1, s0
	s_lshr_b32 s1, s1, s13
	s_mul_i32 s5, s1, s14
	s_cmp_eq_u32 s5, s0
	s_cselect_b32 s5, -1, 0
	s_cmp_lt_u32 s1, s11
	s_cselect_b32 s1, -1, 0
	s_or_b32 s1, s1, s5
	s_mov_b32 s5, -1
	s_and_b32 vcc_lo, exec_lo, s1
	s_mov_b32 s1, s8
	s_cbranch_vccnz .LBB27_16
; %bb.15:                               ;   in Loop: Header=BB27_9 Depth=1
	s_add_i32 s1, s8, -1
	s_mov_b32 s5, 0
	s_mov_b32 s16, s0
.LBB27_16:                              ;   in Loop: Header=BB27_9 Depth=1
	v_lshl_add_u32 v7, s8, 10, v0
	s_load_dwordx2 s[6:7], s[6:7], 0x0
	v_ashrrev_i32_e32 v8, 31, v7
	v_lshlrev_b64 v[7:8], 2, v[7:8]
	v_add_co_u32 v7, vcc_lo, s20, v7
	v_add_co_ci_u32_e64 v8, null, s21, v8, vcc_lo
	s_waitcnt lgkmcnt(0)
	v_max_f32_e64 v9, s6, s6
	global_load_dword v8, v[7:8], off
	v_max_f32_e32 v7, v6, v6
	v_max_f32_e32 v7, v7, v9
	v_sub_f32_e32 v9, s6, v7
	v_sub_f32_e32 v10, v6, v7
	v_mul_f32_e32 v11, 0x3fb8aa3b, v9
	v_mul_f32_e32 v12, 0x3fb8aa3b, v10
	v_cmp_ngt_f32_e32 vcc_lo, 0xc2ce8ed0, v9
	v_fma_f32 v13, 0x3fb8aa3b, v9, -v11
	v_rndne_f32_e32 v14, v11
	v_fma_f32 v15, 0x3fb8aa3b, v10, -v12
	v_rndne_f32_e32 v16, v12
	v_fmac_f32_e32 v13, 0x32a5705f, v9
	v_sub_f32_e32 v11, v11, v14
	v_fmac_f32_e32 v15, 0x32a5705f, v10
	v_sub_f32_e32 v12, v12, v16
	v_add_f32_e32 v11, v11, v13
	v_cvt_i32_f32_e32 v13, v14
	v_add_f32_e32 v12, v12, v15
	v_cvt_i32_f32_e32 v14, v16
	v_exp_f32_e32 v11, v11
	v_exp_f32_e32 v12, v12
	v_ldexp_f32 v11, v11, v13
	v_ldexp_f32 v12, v12, v14
	v_cndmask_b32_e32 v11, 0, v11, vcc_lo
	v_cmp_ngt_f32_e32 vcc_lo, 0xc2ce8ed0, v10
	v_cndmask_b32_e32 v12, 0, v12, vcc_lo
	v_cmp_nlt_f32_e32 vcc_lo, 0x42b17218, v9
	v_cndmask_b32_e32 v11, 0x7f800000, v11, vcc_lo
	v_cmp_nlt_f32_e32 vcc_lo, 0x42b17218, v10
	v_cndmask_b32_e32 v12, 0x7f800000, v12, vcc_lo
	v_cmp_le_f32_e32 vcc_lo, 0xc1a00000, v9
	v_cndmask_b32_e32 v9, 0, v11, vcc_lo
	v_cmp_le_f32_e32 vcc_lo, 0xc1a00000, v10
	v_cndmask_b32_e32 v10, 0, v12, vcc_lo
	s_waitcnt vmcnt(0)
	v_mul_f32_e32 v8, v8, v9
	v_mul_f32_e32 v9, s7, v9
	v_fmac_f32_e32 v8, v3, v10
	v_fmac_f32_e32 v9, v5, v10
	s_cbranch_execz .LBB27_19
.LBB27_17:                              ;   in Loop: Header=BB27_9 Depth=1
	s_andn2_b32 vcc_lo, exec_lo, s5
	s_cbranch_vccnz .LBB27_20
	s_branch .LBB27_23
.LBB27_18:                              ;   in Loop: Header=BB27_9 Depth=1
	s_andn2_b32 vcc_lo, exec_lo, s6
	s_cbranch_vccnz .LBB27_17
.LBB27_19:                              ;   in Loop: Header=BB27_9 Depth=1
	v_mov_b32_e32 v9, v5
	v_mov_b32_e32 v7, v6
	s_waitcnt vmcnt(0)
	v_mov_b32_e32 v8, v3
	s_add_i32 s1, s8, -1
	s_mov_b32 s16, s10
	s_cbranch_execz .LBB27_23
.LBB27_20:                              ;   in Loop: Header=BB27_9 Depth=1
	v_mov_b32_e32 v5, v9
	v_mov_b32_e32 v6, v7
	s_waitcnt vmcnt(0)
	v_mov_b32_e32 v3, v8
	s_mov_b32 s10, s16
	s_mov_b32 s8, s1
	s_branch .LBB27_9
.LBB27_21:
                                        ; implicit-def: $sgpr10_sgpr11
	s_load_dwordx4 s[12:15], s[4:5], 0x44
	s_branch .LBB27_2
.LBB27_22:
                                        ; implicit-def: $sgpr18_sgpr19
	s_branch .LBB27_5
.LBB27_23:
	v_div_scale_f32 v0, null, v9, v9, v8
	s_waitcnt vmcnt(0)
	v_rcp_f32_e32 v3, v0
	v_fma_f32 v4, -v0, v3, 1.0
	v_fmac_f32_e32 v3, v4, v3
	v_div_scale_f32 v4, vcc_lo, v8, v9, v8
	v_mul_f32_e32 v5, v4, v3
	v_fma_f32 v6, -v0, v5, v4
	v_fmac_f32_e32 v5, v6, v3
	v_fma_f32 v0, -v0, v5, v4
	v_div_fmas_f32 v0, v0, v3, v5
	v_div_fixup_f32 v0, v0, v9, v8
	global_store_dword v[1:2], v0, off
.LBB27_24:
	s_endpgm
	.section	.rodata,"a",@progbits
	.p2align	6, 0x0
	.amdhsa_kernel _ZL33flash_attn_stream_k_fixup_generalILi128ELi8ELi1EEvPfPK15HIP_vector_typeIfLj2EEiiiiS1_IjLj3EES5_S5_S5_
		.amdhsa_group_segment_fixed_size 0
		.amdhsa_private_segment_fixed_size 0
		.amdhsa_kernarg_size 336
		.amdhsa_user_sgpr_count 6
		.amdhsa_user_sgpr_private_segment_buffer 1
		.amdhsa_user_sgpr_dispatch_ptr 0
		.amdhsa_user_sgpr_queue_ptr 0
		.amdhsa_user_sgpr_kernarg_segment_ptr 1
		.amdhsa_user_sgpr_dispatch_id 0
		.amdhsa_user_sgpr_flat_scratch_init 0
		.amdhsa_user_sgpr_private_segment_size 0
		.amdhsa_wavefront_size32 1
		.amdhsa_uses_dynamic_stack 0
		.amdhsa_system_sgpr_private_segment_wavefront_offset 0
		.amdhsa_system_sgpr_workgroup_id_x 1
		.amdhsa_system_sgpr_workgroup_id_y 1
		.amdhsa_system_sgpr_workgroup_id_z 1
		.amdhsa_system_sgpr_workgroup_info 0
		.amdhsa_system_vgpr_workitem_id 0
		.amdhsa_next_free_vgpr 17
		.amdhsa_next_free_sgpr 31
		.amdhsa_reserve_vcc 1
		.amdhsa_reserve_flat_scratch 0
		.amdhsa_float_round_mode_32 0
		.amdhsa_float_round_mode_16_64 0
		.amdhsa_float_denorm_mode_32 3
		.amdhsa_float_denorm_mode_16_64 3
		.amdhsa_dx10_clamp 1
		.amdhsa_ieee_mode 1
		.amdhsa_fp16_overflow 0
		.amdhsa_workgroup_processor_mode 1
		.amdhsa_memory_ordered 1
		.amdhsa_forward_progress 1
		.amdhsa_shared_vgpr_count 0
		.amdhsa_exception_fp_ieee_invalid_op 0
		.amdhsa_exception_fp_denorm_src 0
		.amdhsa_exception_fp_ieee_div_zero 0
		.amdhsa_exception_fp_ieee_overflow 0
		.amdhsa_exception_fp_ieee_underflow 0
		.amdhsa_exception_fp_ieee_inexact 0
		.amdhsa_exception_int_div_zero 0
	.end_amdhsa_kernel
	.section	.text._ZL33flash_attn_stream_k_fixup_generalILi128ELi8ELi1EEvPfPK15HIP_vector_typeIfLj2EEiiiiS1_IjLj3EES5_S5_S5_,"axG",@progbits,_ZL33flash_attn_stream_k_fixup_generalILi128ELi8ELi1EEvPfPK15HIP_vector_typeIfLj2EEiiiiS1_IjLj3EES5_S5_S5_,comdat
.Lfunc_end27:
	.size	_ZL33flash_attn_stream_k_fixup_generalILi128ELi8ELi1EEvPfPK15HIP_vector_typeIfLj2EEiiiiS1_IjLj3EES5_S5_S5_, .Lfunc_end27-_ZL33flash_attn_stream_k_fixup_generalILi128ELi8ELi1EEvPfPK15HIP_vector_typeIfLj2EEiiiiS1_IjLj3EES5_S5_S5_
                                        ; -- End function
	.set _ZL33flash_attn_stream_k_fixup_generalILi128ELi8ELi1EEvPfPK15HIP_vector_typeIfLj2EEiiiiS1_IjLj3EES5_S5_S5_.num_vgpr, 17
	.set _ZL33flash_attn_stream_k_fixup_generalILi128ELi8ELi1EEvPfPK15HIP_vector_typeIfLj2EEiiiiS1_IjLj3EES5_S5_S5_.num_agpr, 0
	.set _ZL33flash_attn_stream_k_fixup_generalILi128ELi8ELi1EEvPfPK15HIP_vector_typeIfLj2EEiiiiS1_IjLj3EES5_S5_S5_.numbered_sgpr, 31
	.set _ZL33flash_attn_stream_k_fixup_generalILi128ELi8ELi1EEvPfPK15HIP_vector_typeIfLj2EEiiiiS1_IjLj3EES5_S5_S5_.num_named_barrier, 0
	.set _ZL33flash_attn_stream_k_fixup_generalILi128ELi8ELi1EEvPfPK15HIP_vector_typeIfLj2EEiiiiS1_IjLj3EES5_S5_S5_.private_seg_size, 0
	.set _ZL33flash_attn_stream_k_fixup_generalILi128ELi8ELi1EEvPfPK15HIP_vector_typeIfLj2EEiiiiS1_IjLj3EES5_S5_S5_.uses_vcc, 1
	.set _ZL33flash_attn_stream_k_fixup_generalILi128ELi8ELi1EEvPfPK15HIP_vector_typeIfLj2EEiiiiS1_IjLj3EES5_S5_S5_.uses_flat_scratch, 0
	.set _ZL33flash_attn_stream_k_fixup_generalILi128ELi8ELi1EEvPfPK15HIP_vector_typeIfLj2EEiiiiS1_IjLj3EES5_S5_S5_.has_dyn_sized_stack, 0
	.set _ZL33flash_attn_stream_k_fixup_generalILi128ELi8ELi1EEvPfPK15HIP_vector_typeIfLj2EEiiiiS1_IjLj3EES5_S5_S5_.has_recursion, 0
	.set _ZL33flash_attn_stream_k_fixup_generalILi128ELi8ELi1EEvPfPK15HIP_vector_typeIfLj2EEiiiiS1_IjLj3EES5_S5_S5_.has_indirect_call, 0
	.section	.AMDGPU.csdata,"",@progbits
; Kernel info:
; codeLenInByte = 2936
; TotalNumSgprs: 33
; NumVgprs: 17
; ScratchSize: 0
; MemoryBound: 0
; FloatMode: 240
; IeeeMode: 1
; LDSByteSize: 0 bytes/workgroup (compile time only)
; SGPRBlocks: 0
; VGPRBlocks: 2
; NumSGPRsForWavesPerEU: 33
; NumVGPRsForWavesPerEU: 17
; Occupancy: 16
; WaveLimiterHint : 0
; COMPUTE_PGM_RSRC2:SCRATCH_EN: 0
; COMPUTE_PGM_RSRC2:USER_SGPR: 6
; COMPUTE_PGM_RSRC2:TRAP_HANDLER: 0
; COMPUTE_PGM_RSRC2:TGID_X_EN: 1
; COMPUTE_PGM_RSRC2:TGID_Y_EN: 1
; COMPUTE_PGM_RSRC2:TGID_Z_EN: 1
; COMPUTE_PGM_RSRC2:TIDIG_COMP_CNT: 0
	.section	.text._ZL26flash_attn_combine_resultsILi128EEvPKfPK15HIP_vector_typeIfLj2EEPfi,"axG",@progbits,_ZL26flash_attn_combine_resultsILi128EEvPKfPK15HIP_vector_typeIfLj2EEPfi,comdat
	.globl	_ZL26flash_attn_combine_resultsILi128EEvPKfPK15HIP_vector_typeIfLj2EEPfi ; -- Begin function _ZL26flash_attn_combine_resultsILi128EEvPKfPK15HIP_vector_typeIfLj2EEPfi
	.p2align	8
	.type	_ZL26flash_attn_combine_resultsILi128EEvPKfPK15HIP_vector_typeIfLj2EEPfi,@function
_ZL26flash_attn_combine_resultsILi128EEvPKfPK15HIP_vector_typeIfLj2EEPfi: ; @_ZL26flash_attn_combine_resultsILi128EEvPKfPK15HIP_vector_typeIfLj2EEPfi
; %bb.0:
	s_clause 0x3
	s_load_dwordx2 s[2:3], s[4:5], 0x20
	s_load_dword s9, s[4:5], 0x18
	s_load_dwordx4 s[12:15], s[4:5], 0x0
	s_load_dwordx2 s[10:11], s[4:5], 0x10
	v_lshlrev_b32_e32 v5, 2, v0
	s_mov_b32 s4, exec_lo
	s_waitcnt lgkmcnt(0)
	s_mul_i32 s0, s2, s8
	s_lshl_b32 s1, s9, 1
	s_add_i32 s0, s0, s6
	s_mul_i32 s6, s0, s3
	s_add_i32 s6, s6, s7
	s_mul_i32 s2, s6, s9
	v_cmpx_gt_i32_e64 s1, v0
	s_cbranch_execz .LBB28_3
; %bb.1:
	s_ashr_i32 s3, s2, 31
	v_add_nc_u32_e32 v3, 0, v5
	s_lshl_b64 s[16:17], s[2:3], 3
	v_mov_b32_e32 v4, v0
	s_add_u32 s0, s14, s16
	s_addc_u32 s3, s15, s17
	v_add_co_u32 v1, s0, s0, v5
	v_add_co_ci_u32_e64 v2, null, s3, 0, s0
	s_mov_b32 s3, 0
	.p2align	6
.LBB28_2:                               ; =>This Inner Loop Header: Depth=1
	global_load_dword v6, v[1:2], off
	v_add_nc_u32_e32 v4, 0x80, v4
	v_add_co_u32 v1, vcc_lo, 0x200, v1
	v_add_co_ci_u32_e64 v2, null, 0, v2, vcc_lo
	v_cmp_le_i32_e64 s0, s1, v4
	s_or_b32 s3, s0, s3
	s_waitcnt vmcnt(0)
	ds_write_b32 v3, v6
	v_add_nc_u32_e32 v3, 0x200, v3
	s_andn2_b32 exec_lo, exec_lo, s3
	s_cbranch_execnz .LBB28_2
.LBB28_3:
	s_or_b32 exec_lo, exec_lo, s4
	v_mov_b32_e32 v1, 0
	s_waitcnt lgkmcnt(0)
	s_barrier
	buffer_gl0_inv
	s_cmp_lt_i32 s9, 2
	ds_read_b32 v6, v1
	s_cbranch_scc1 .LBB28_11
; %bb.4:
	s_add_i32 s1, s9, -2
	s_add_i32 s0, s9, -1
	s_cmp_lt_u32 s1, 7
	s_cbranch_scc1 .LBB28_8
; %bb.5:
	s_mov_b32 s3, 0
	s_add_i32 s1, 0, 8
	s_and_b32 s4, s0, -8
	.p2align	6
.LBB28_6:                               ; =>This Inner Loop Header: Depth=1
	v_mov_b32_e32 v9, s1
	s_mov_b32 s5, s3
	s_add_i32 s3, s3, 8
	s_add_i32 s1, s1, 64
	s_cmp_eq_u32 s4, s3
	ds_read2_b32 v[1:2], v9 offset1:2
	ds_read2_b32 v[3:4], v9 offset0:4 offset1:6
	ds_read2_b32 v[7:8], v9 offset0:8 offset1:10
	;; [unrolled: 1-line block ×3, first 2 shown]
	s_waitcnt lgkmcnt(3)
	v_max3_f32 v1, v6, v1, v2
	s_waitcnt lgkmcnt(2)
	v_max3_f32 v1, v1, v3, v4
	;; [unrolled: 2-line block ×4, first 2 shown]
	s_cbranch_scc0 .LBB28_6
; %bb.7:
	s_add_i32 s1, s5, 9
	s_and_b32 s0, s0, 7
	s_cmp_eq_u32 s0, 0
	s_cbranch_scc0 .LBB28_9
	s_branch .LBB28_11
.LBB28_8:
	s_mov_b32 s1, 1
	s_and_b32 s0, s0, 7
	s_cmp_eq_u32 s0, 0
	s_cbranch_scc1 .LBB28_11
.LBB28_9:
	s_lshl_b32 s1, s1, 3
	s_add_i32 s1, s1, 0
.LBB28_10:                              ; =>This Inner Loop Header: Depth=1
	v_mov_b32_e32 v1, s1
	s_waitcnt lgkmcnt(0)
	v_max_f32_e32 v2, v6, v6
	s_add_i32 s0, s0, -1
	s_add_i32 s1, s1, 8
	s_cmp_lg_u32 s0, 0
	ds_read_b32 v1, v1
	s_waitcnt lgkmcnt(0)
	v_max_f32_e32 v1, v1, v1
	v_max_f32_e32 v6, v2, v1
	s_cbranch_scc1 .LBB28_10
.LBB28_11:
	s_cmp_lt_i32 s9, 1
	s_cbranch_scc1 .LBB28_16
; %bb.12:
	s_lshl_b32 s0, s2, 7
	s_ashr_i32 s1, s0, 31
	s_lshl_b64 s[0:1], s[0:1], 2
	s_add_u32 s7, s12, s0
	s_addc_u32 s8, s13, s1
	s_cmp_lt_u32 s9, 8
	s_cbranch_scc1 .LBB28_17
; %bb.13:
	v_or_b32_e32 v1, 0x380, v0
	v_mov_b32_e32 v4, 0
	v_mov_b32_e32 v7, 0
	;; [unrolled: 1-line block ×3, first 2 shown]
	s_and_b32 s12, s9, 0x7ffffff8
	s_mov_b32 s13, 0
	s_mov_b32 s14, 0
.LBB28_14:                              ; =>This Inner Loop Header: Depth=1
	v_add_nc_u32_e32 v3, 0xfffffc80, v1
	v_mov_b32_e32 v2, v4
	v_mov_b32_e32 v21, s14
	s_add_i32 s13, s13, 8
	s_add_i32 s14, s14, 64
	v_lshlrev_b64 v[9:10], 2, v[3:4]
	v_add_nc_u32_e32 v3, 0xfffffd00, v1
	v_lshlrev_b64 v[11:12], 2, v[1:2]
	s_cmp_eq_u32 s12, s13
	v_lshlrev_b64 v[13:14], 2, v[3:4]
	v_add_nc_u32_e32 v3, 0xfffffd80, v1
	v_add_co_u32 v9, vcc_lo, s7, v9
	v_add_co_ci_u32_e64 v10, null, s8, v10, vcc_lo
	v_add_co_u32 v13, vcc_lo, s7, v13
	v_lshlrev_b64 v[15:16], 2, v[3:4]
	v_add_nc_u32_e32 v3, 0xfffffe00, v1
	v_add_co_ci_u32_e64 v14, null, s8, v14, vcc_lo
	s_clause 0x1
	global_load_dword v25, v[9:10], off
	global_load_dword v26, v[13:14], off
	v_lshlrev_b64 v[9:10], 2, v[3:4]
	v_add_nc_u32_e32 v3, 0xfffffe80, v1
	v_add_co_u32 v13, vcc_lo, s7, v15
	v_add_co_ci_u32_e64 v14, null, s8, v16, vcc_lo
	v_add_co_u32 v9, vcc_lo, s7, v9
	v_lshlrev_b64 v[15:16], 2, v[3:4]
	v_add_nc_u32_e32 v3, 0xffffff00, v1
	v_add_co_ci_u32_e64 v10, null, s8, v10, vcc_lo
	s_clause 0x1
	global_load_dword v27, v[13:14], off
	global_load_dword v28, v[9:10], off
	v_lshlrev_b64 v[13:14], 2, v[3:4]
	v_add_nc_u32_e32 v3, 0xffffff80, v1
	v_add_co_u32 v9, vcc_lo, s7, v15
	v_add_co_ci_u32_e64 v10, null, s8, v16, vcc_lo
	v_add_co_u32 v13, vcc_lo, s7, v13
	v_lshlrev_b64 v[2:3], 2, v[3:4]
	v_add_co_ci_u32_e64 v14, null, s8, v14, vcc_lo
	s_clause 0x1
	global_load_dword v29, v[9:10], off
	global_load_dword v30, v[13:14], off
	v_add_co_u32 v2, vcc_lo, s7, v2
	v_add_co_ci_u32_e64 v3, null, s8, v3, vcc_lo
	v_add_co_u32 v9, vcc_lo, s7, v11
	v_add_co_ci_u32_e64 v10, null, s8, v12, vcc_lo
	s_clause 0x1
	global_load_dword v2, v[2:3], off
	global_load_dword v3, v[9:10], off
	ds_read2_b64 v[9:12], v21 offset1:1
	ds_read2_b64 v[13:16], v21 offset0:2 offset1:3
	ds_read2_b64 v[17:20], v21 offset0:4 offset1:5
	;; [unrolled: 1-line block ×3, first 2 shown]
	v_add_nc_u32_e32 v1, 0x400, v1
	s_waitcnt lgkmcnt(3)
	v_sub_f32_e32 v9, v9, v6
	v_sub_f32_e32 v11, v11, v6
	s_waitcnt lgkmcnt(2)
	v_sub_f32_e32 v13, v13, v6
	v_sub_f32_e32 v15, v15, v6
	s_waitcnt lgkmcnt(1)
	v_sub_f32_e32 v17, v17, v6
	v_mul_f32_e32 v31, 0x3fb8aa3b, v9
	v_mul_f32_e32 v32, 0x3fb8aa3b, v11
	;; [unrolled: 1-line block ×4, first 2 shown]
	v_sub_f32_e32 v19, v19, v6
	v_fma_f32 v39, 0x3fb8aa3b, v9, -v31
	v_rndne_f32_e32 v40, v31
	v_fma_f32 v41, 0x3fb8aa3b, v11, -v32
	v_rndne_f32_e32 v42, v32
	v_fma_f32 v43, 0x3fb8aa3b, v13, -v33
	v_fmac_f32_e32 v39, 0x32a5705f, v9
	v_sub_f32_e32 v31, v31, v40
	v_rndne_f32_e32 v44, v33
	v_fmac_f32_e32 v41, 0x32a5705f, v11
	v_sub_f32_e32 v32, v32, v42
	v_fmac_f32_e32 v43, 0x32a5705f, v13
	v_add_f32_e32 v31, v31, v39
	v_sub_f32_e32 v33, v33, v44
	v_mul_f32_e32 v35, 0x3fb8aa3b, v17
	v_add_f32_e32 v32, v32, v41
	v_fma_f32 v45, 0x3fb8aa3b, v15, -v34
	v_exp_f32_e32 v31, v31
	v_rndne_f32_e32 v46, v34
	v_add_f32_e32 v33, v33, v43
	v_cvt_i32_f32_e32 v40, v40
	v_exp_f32_e32 v32, v32
	s_waitcnt lgkmcnt(0)
	v_sub_f32_e32 v21, v21, v6
	v_mul_f32_e32 v36, 0x3fb8aa3b, v19
	v_fma_f32 v47, 0x3fb8aa3b, v17, -v35
	v_rndne_f32_e32 v48, v35
	v_cvt_i32_f32_e32 v42, v42
	v_fmac_f32_e32 v45, 0x32a5705f, v15
	v_sub_f32_e32 v34, v34, v46
	v_exp_f32_e32 v33, v33
	v_ldexp_f32 v31, v31, v40
	v_cmp_ngt_f32_e64 s5, 0xc2ce8ed0, v9
	v_sub_f32_e32 v23, v23, v6
	v_mul_f32_e32 v37, 0x3fb8aa3b, v21
	v_fma_f32 v49, 0x3fb8aa3b, v19, -v36
	v_rndne_f32_e32 v50, v36
	v_cvt_i32_f32_e32 v44, v44
	v_fmac_f32_e32 v47, 0x32a5705f, v17
	v_sub_f32_e32 v35, v35, v48
	v_add_f32_e32 v34, v34, v45
	v_ldexp_f32 v32, v32, v42
	v_cndmask_b32_e64 v31, 0, v31, s5
	v_cmp_ngt_f32_e64 s5, 0xc2ce8ed0, v11
	v_mul_f32_e32 v38, 0x3fb8aa3b, v23
	v_fma_f32 v51, 0x3fb8aa3b, v21, -v37
	v_rndne_f32_e32 v39, v37
	v_fmac_f32_e32 v49, 0x32a5705f, v19
	v_sub_f32_e32 v36, v36, v50
	v_add_f32_e32 v35, v35, v47
	v_exp_f32_e32 v34, v34
	v_ldexp_f32 v33, v33, v44
	v_cmp_ngt_f32_e32 vcc_lo, 0xc2ce8ed0, v13
	v_cndmask_b32_e64 v32, 0, v32, s5
	v_cmp_nlt_f32_e64 s5, 0x42b17218, v9
	v_fma_f32 v41, 0x3fb8aa3b, v23, -v38
	v_rndne_f32_e32 v43, v38
	v_cvt_i32_f32_e32 v46, v46
	v_fmac_f32_e32 v51, 0x32a5705f, v21
	v_sub_f32_e32 v37, v37, v39
	v_add_f32_e32 v36, v36, v49
	v_exp_f32_e32 v35, v35
	v_cndmask_b32_e64 v9, 0x7f800000, v31, s5
	v_cndmask_b32_e32 v31, 0, v33, vcc_lo
	v_cmp_nlt_f32_e32 vcc_lo, 0x42b17218, v11
	v_cvt_i32_f32_e32 v48, v48
	v_fmac_f32_e32 v41, 0x32a5705f, v23
	v_sub_f32_e32 v38, v38, v43
	v_add_f32_e32 v37, v37, v51
	v_exp_f32_e32 v36, v36
	v_ldexp_f32 v34, v34, v46
	v_cmp_ngt_f32_e64 s0, 0xc2ce8ed0, v15
	v_cndmask_b32_e32 v11, 0x7f800000, v32, vcc_lo
	v_fmac_f32_e32 v8, v9, v10
	v_cmp_nlt_f32_e32 vcc_lo, 0x42b17218, v13
	v_cvt_i32_f32_e32 v50, v50
	v_add_f32_e32 v38, v38, v41
	v_exp_f32_e32 v37, v37
	v_ldexp_f32 v35, v35, v48
	v_cmp_ngt_f32_e64 s1, 0xc2ce8ed0, v17
	v_cndmask_b32_e32 v10, 0x7f800000, v31, vcc_lo
	v_fmac_f32_e32 v8, v11, v12
	v_cmp_nlt_f32_e32 vcc_lo, 0x42b17218, v15
	v_cvt_i32_f32_e32 v39, v39
	v_exp_f32_e32 v38, v38
	v_ldexp_f32 v36, v36, v50
	v_cmp_ngt_f32_e64 s2, 0xc2ce8ed0, v19
	v_fmac_f32_e32 v8, v10, v14
	v_cvt_i32_f32_e32 v43, v43
	v_ldexp_f32 v37, v37, v39
	v_cmp_ngt_f32_e64 s3, 0xc2ce8ed0, v21
	v_cmp_ngt_f32_e64 s4, 0xc2ce8ed0, v23
	v_ldexp_f32 v38, v38, v43
	s_waitcnt vmcnt(7)
	v_fmac_f32_e32 v7, v25, v9
	v_cndmask_b32_e64 v9, 0, v34, s0
	s_waitcnt vmcnt(6)
	v_fmac_f32_e32 v7, v26, v11
	v_cndmask_b32_e64 v11, 0, v35, s1
	v_cndmask_b32_e32 v9, 0x7f800000, v9, vcc_lo
	v_cmp_nlt_f32_e32 vcc_lo, 0x42b17218, v17
	v_fmac_f32_e32 v8, v9, v16
	v_cndmask_b32_e32 v11, 0x7f800000, v11, vcc_lo
	v_cmp_nlt_f32_e32 vcc_lo, 0x42b17218, v19
	s_waitcnt vmcnt(5)
	v_fmac_f32_e32 v7, v27, v10
	v_cndmask_b32_e64 v10, 0, v36, s2
	v_fmac_f32_e32 v8, v11, v18
	s_waitcnt vmcnt(4)
	v_fmac_f32_e32 v7, v28, v9
	v_cndmask_b32_e64 v9, 0, v37, s3
	v_cndmask_b32_e32 v10, 0x7f800000, v10, vcc_lo
	v_cmp_nlt_f32_e32 vcc_lo, 0x42b17218, v21
	v_fmac_f32_e32 v8, v10, v20
	v_cndmask_b32_e32 v9, 0x7f800000, v9, vcc_lo
	v_cmp_nlt_f32_e32 vcc_lo, 0x42b17218, v23
	s_waitcnt vmcnt(3)
	v_fmac_f32_e32 v7, v29, v11
	v_cndmask_b32_e64 v11, 0, v38, s4
	v_fmac_f32_e32 v8, v9, v22
	s_waitcnt vmcnt(2)
	v_fmac_f32_e32 v7, v30, v10
	v_cndmask_b32_e32 v10, 0x7f800000, v11, vcc_lo
	s_waitcnt vmcnt(1)
	v_fmac_f32_e32 v7, v2, v9
	v_fmac_f32_e32 v8, v10, v24
	s_waitcnt vmcnt(0)
	v_fmac_f32_e32 v7, v3, v10
	s_cbranch_scc0 .LBB28_14
; %bb.15:
	s_and_b32 s0, s9, 7
	s_cmp_eq_u32 s0, 0
	s_cbranch_scc0 .LBB28_18
	s_branch .LBB28_20
.LBB28_16:
	v_mov_b32_e32 v0, 0x7fc00000
	s_branch .LBB28_21
.LBB28_17:
	v_mov_b32_e32 v7, 0
	v_mov_b32_e32 v8, 0
	s_mov_b32 s12, 0
	s_and_b32 s0, s9, 7
	s_cmp_eq_u32 s0, 0
	s_cbranch_scc1 .LBB28_20
.LBB28_18:
	v_lshl_or_b32 v0, s12, 7, v0
	v_mov_b32_e32 v1, 0
	s_lshl_b32 s1, s12, 3
	s_add_i32 s1, s1, 0
	s_inst_prefetch 0x1
	.p2align	6
.LBB28_19:                              ; =>This Inner Loop Header: Depth=1
	v_lshlrev_b64 v[2:3], 2, v[0:1]
	v_add_nc_u32_e32 v0, 0x80, v0
	s_add_i32 s0, s0, -1
	v_add_co_u32 v2, vcc_lo, s7, v2
	v_add_co_ci_u32_e64 v3, null, s8, v3, vcc_lo
	global_load_dword v4, v[2:3], off
	v_mov_b32_e32 v2, s1
	s_add_i32 s1, s1, 8
	s_cmp_lg_u32 s0, 0
	ds_read_b64 v[2:3], v2
	s_waitcnt lgkmcnt(0)
	v_sub_f32_e32 v2, v2, v6
	v_mul_f32_e32 v9, 0x3fb8aa3b, v2
	v_cmp_ngt_f32_e32 vcc_lo, 0xc2ce8ed0, v2
	v_fma_f32 v10, 0x3fb8aa3b, v2, -v9
	v_rndne_f32_e32 v11, v9
	v_fmac_f32_e32 v10, 0x32a5705f, v2
	v_sub_f32_e32 v9, v9, v11
	v_add_f32_e32 v9, v9, v10
	v_cvt_i32_f32_e32 v10, v11
	v_exp_f32_e32 v9, v9
	v_ldexp_f32 v9, v9, v10
	v_cndmask_b32_e32 v9, 0, v9, vcc_lo
	v_cmp_nlt_f32_e32 vcc_lo, 0x42b17218, v2
	v_cndmask_b32_e32 v2, 0x7f800000, v9, vcc_lo
	v_fmac_f32_e32 v8, v2, v3
	s_waitcnt vmcnt(0)
	v_fmac_f32_e32 v7, v4, v2
	s_cbranch_scc1 .LBB28_19
.LBB28_20:
	s_inst_prefetch 0x2
	v_div_scale_f32 v0, null, v8, v8, v7
	v_rcp_f32_e32 v1, v0
	v_fma_f32 v2, -v0, v1, 1.0
	v_fmac_f32_e32 v1, v2, v1
	v_div_scale_f32 v2, vcc_lo, v7, v8, v7
	v_mul_f32_e32 v3, v2, v1
	v_fma_f32 v4, -v0, v3, v2
	v_fmac_f32_e32 v3, v4, v1
	v_fma_f32 v0, -v0, v3, v2
	v_div_fmas_f32 v0, v0, v1, v3
	v_div_fixup_f32 v0, v0, v8, v7
.LBB28_21:
	s_lshl_b32 s0, s6, 7
	s_ashr_i32 s1, s0, 31
	s_lshl_b64 s[0:1], s[0:1], 2
	s_add_u32 s0, s10, s0
	s_addc_u32 s1, s11, s1
	global_store_dword v5, v0, s[0:1]
	s_endpgm
	.section	.rodata,"a",@progbits
	.p2align	6, 0x0
	.amdhsa_kernel _ZL26flash_attn_combine_resultsILi128EEvPKfPK15HIP_vector_typeIfLj2EEPfi
		.amdhsa_group_segment_fixed_size 0
		.amdhsa_private_segment_fixed_size 0
		.amdhsa_kernarg_size 288
		.amdhsa_user_sgpr_count 6
		.amdhsa_user_sgpr_private_segment_buffer 1
		.amdhsa_user_sgpr_dispatch_ptr 0
		.amdhsa_user_sgpr_queue_ptr 0
		.amdhsa_user_sgpr_kernarg_segment_ptr 1
		.amdhsa_user_sgpr_dispatch_id 0
		.amdhsa_user_sgpr_flat_scratch_init 0
		.amdhsa_user_sgpr_private_segment_size 0
		.amdhsa_wavefront_size32 1
		.amdhsa_uses_dynamic_stack 0
		.amdhsa_system_sgpr_private_segment_wavefront_offset 0
		.amdhsa_system_sgpr_workgroup_id_x 1
		.amdhsa_system_sgpr_workgroup_id_y 1
		.amdhsa_system_sgpr_workgroup_id_z 1
		.amdhsa_system_sgpr_workgroup_info 0
		.amdhsa_system_vgpr_workitem_id 0
		.amdhsa_next_free_vgpr 52
		.amdhsa_next_free_sgpr 18
		.amdhsa_reserve_vcc 1
		.amdhsa_reserve_flat_scratch 0
		.amdhsa_float_round_mode_32 0
		.amdhsa_float_round_mode_16_64 0
		.amdhsa_float_denorm_mode_32 3
		.amdhsa_float_denorm_mode_16_64 3
		.amdhsa_dx10_clamp 1
		.amdhsa_ieee_mode 1
		.amdhsa_fp16_overflow 0
		.amdhsa_workgroup_processor_mode 1
		.amdhsa_memory_ordered 1
		.amdhsa_forward_progress 1
		.amdhsa_shared_vgpr_count 0
		.amdhsa_exception_fp_ieee_invalid_op 0
		.amdhsa_exception_fp_denorm_src 0
		.amdhsa_exception_fp_ieee_div_zero 0
		.amdhsa_exception_fp_ieee_overflow 0
		.amdhsa_exception_fp_ieee_underflow 0
		.amdhsa_exception_fp_ieee_inexact 0
		.amdhsa_exception_int_div_zero 0
	.end_amdhsa_kernel
	.section	.text._ZL26flash_attn_combine_resultsILi128EEvPKfPK15HIP_vector_typeIfLj2EEPfi,"axG",@progbits,_ZL26flash_attn_combine_resultsILi128EEvPKfPK15HIP_vector_typeIfLj2EEPfi,comdat
.Lfunc_end28:
	.size	_ZL26flash_attn_combine_resultsILi128EEvPKfPK15HIP_vector_typeIfLj2EEPfi, .Lfunc_end28-_ZL26flash_attn_combine_resultsILi128EEvPKfPK15HIP_vector_typeIfLj2EEPfi
                                        ; -- End function
	.set _ZL26flash_attn_combine_resultsILi128EEvPKfPK15HIP_vector_typeIfLj2EEPfi.num_vgpr, 52
	.set _ZL26flash_attn_combine_resultsILi128EEvPKfPK15HIP_vector_typeIfLj2EEPfi.num_agpr, 0
	.set _ZL26flash_attn_combine_resultsILi128EEvPKfPK15HIP_vector_typeIfLj2EEPfi.numbered_sgpr, 18
	.set _ZL26flash_attn_combine_resultsILi128EEvPKfPK15HIP_vector_typeIfLj2EEPfi.num_named_barrier, 0
	.set _ZL26flash_attn_combine_resultsILi128EEvPKfPK15HIP_vector_typeIfLj2EEPfi.private_seg_size, 0
	.set _ZL26flash_attn_combine_resultsILi128EEvPKfPK15HIP_vector_typeIfLj2EEPfi.uses_vcc, 1
	.set _ZL26flash_attn_combine_resultsILi128EEvPKfPK15HIP_vector_typeIfLj2EEPfi.uses_flat_scratch, 0
	.set _ZL26flash_attn_combine_resultsILi128EEvPKfPK15HIP_vector_typeIfLj2EEPfi.has_dyn_sized_stack, 0
	.set _ZL26flash_attn_combine_resultsILi128EEvPKfPK15HIP_vector_typeIfLj2EEPfi.has_recursion, 0
	.set _ZL26flash_attn_combine_resultsILi128EEvPKfPK15HIP_vector_typeIfLj2EEPfi.has_indirect_call, 0
	.section	.AMDGPU.csdata,"",@progbits
; Kernel info:
; codeLenInByte = 2264
; TotalNumSgprs: 20
; NumVgprs: 52
; ScratchSize: 0
; MemoryBound: 0
; FloatMode: 240
; IeeeMode: 1
; LDSByteSize: 0 bytes/workgroup (compile time only)
; SGPRBlocks: 0
; VGPRBlocks: 6
; NumSGPRsForWavesPerEU: 20
; NumVGPRsForWavesPerEU: 52
; Occupancy: 16
; WaveLimiterHint : 0
; COMPUTE_PGM_RSRC2:SCRATCH_EN: 0
; COMPUTE_PGM_RSRC2:USER_SGPR: 6
; COMPUTE_PGM_RSRC2:TRAP_HANDLER: 0
; COMPUTE_PGM_RSRC2:TGID_X_EN: 1
; COMPUTE_PGM_RSRC2:TGID_Y_EN: 1
; COMPUTE_PGM_RSRC2:TGID_Z_EN: 1
; COMPUTE_PGM_RSRC2:TIDIG_COMP_CNT: 0
	.section	.text._ZL18flash_attn_ext_f16ILi256ELi256ELi8ELi1ELb0ELb0EEvPKcS1_S1_S1_S1_PKiPfP15HIP_vector_typeIfLj2EEffffjfiS5_IjLj3EEiiiiiiiiiiiliiliiiiil,"axG",@progbits,_ZL18flash_attn_ext_f16ILi256ELi256ELi8ELi1ELb0ELb0EEvPKcS1_S1_S1_S1_PKiPfP15HIP_vector_typeIfLj2EEffffjfiS5_IjLj3EEiiiiiiiiiiiliiliiiiil,comdat
	.globl	_ZL18flash_attn_ext_f16ILi256ELi256ELi8ELi1ELb0ELb0EEvPKcS1_S1_S1_S1_PKiPfP15HIP_vector_typeIfLj2EEffffjfiS5_IjLj3EEiiiiiiiiiiiliiliiiiil ; -- Begin function _ZL18flash_attn_ext_f16ILi256ELi256ELi8ELi1ELb0ELb0EEvPKcS1_S1_S1_S1_PKiPfP15HIP_vector_typeIfLj2EEffffjfiS5_IjLj3EEiiiiiiiiiiiliiliiiiil
	.p2align	8
	.type	_ZL18flash_attn_ext_f16ILi256ELi256ELi8ELi1ELb0ELb0EEvPKcS1_S1_S1_S1_PKiPfP15HIP_vector_typeIfLj2EEffffjfiS5_IjLj3EEiiiiiiiiiiiliiliiiiil,@function
_ZL18flash_attn_ext_f16ILi256ELi256ELi8ELi1ELb0ELb0EEvPKcS1_S1_S1_S1_PKiPfP15HIP_vector_typeIfLj2EEffffjfiS5_IjLj3EEiiiiiiiiiiiliiliiiiil: ; @_ZL18flash_attn_ext_f16ILi256ELi256ELi8ELi1ELb0ELb0EEvPKcS1_S1_S1_S1_PKiPfP15HIP_vector_typeIfLj2EEffffjfiS5_IjLj3EEiiiiiiiiiiiliiliiiiil
; %bb.0:
	s_add_u32 s0, s0, s7
	s_addc_u32 s1, s1, 0
	s_add_u32 s8, s4, 0xd0
	s_addc_u32 s9, s5, 0
	s_getpc_b64 s[4:5]
	s_add_u32 s4, s4, _ZL14no_device_codePKciS0_iS0_@rel32@lo+4
	s_addc_u32 s5, s5, _ZL14no_device_codePKciS0_iS0_@rel32@hi+12
	s_mov_b32 s32, 0
	s_swappc_b64 s[30:31], s[4:5]
	.section	.rodata,"a",@progbits
	.p2align	6, 0x0
	.amdhsa_kernel _ZL18flash_attn_ext_f16ILi256ELi256ELi8ELi1ELb0ELb0EEvPKcS1_S1_S1_S1_PKiPfP15HIP_vector_typeIfLj2EEffffjfiS5_IjLj3EEiiiiiiiiiiiliiliiiiil
		.amdhsa_group_segment_fixed_size 0
		.amdhsa_private_segment_fixed_size 16
		.amdhsa_kernarg_size 464
		.amdhsa_user_sgpr_count 6
		.amdhsa_user_sgpr_private_segment_buffer 1
		.amdhsa_user_sgpr_dispatch_ptr 0
		.amdhsa_user_sgpr_queue_ptr 0
		.amdhsa_user_sgpr_kernarg_segment_ptr 1
		.amdhsa_user_sgpr_dispatch_id 0
		.amdhsa_user_sgpr_flat_scratch_init 0
		.amdhsa_user_sgpr_private_segment_size 0
		.amdhsa_wavefront_size32 1
		.amdhsa_uses_dynamic_stack 0
		.amdhsa_system_sgpr_private_segment_wavefront_offset 1
		.amdhsa_system_sgpr_workgroup_id_x 1
		.amdhsa_system_sgpr_workgroup_id_y 0
		.amdhsa_system_sgpr_workgroup_id_z 0
		.amdhsa_system_sgpr_workgroup_info 0
		.amdhsa_system_vgpr_workitem_id 0
		.amdhsa_next_free_vgpr 40
		.amdhsa_next_free_sgpr 34
		.amdhsa_reserve_vcc 1
		.amdhsa_reserve_flat_scratch 0
		.amdhsa_float_round_mode_32 0
		.amdhsa_float_round_mode_16_64 0
		.amdhsa_float_denorm_mode_32 3
		.amdhsa_float_denorm_mode_16_64 3
		.amdhsa_dx10_clamp 1
		.amdhsa_ieee_mode 1
		.amdhsa_fp16_overflow 0
		.amdhsa_workgroup_processor_mode 1
		.amdhsa_memory_ordered 1
		.amdhsa_forward_progress 1
		.amdhsa_shared_vgpr_count 0
		.amdhsa_exception_fp_ieee_invalid_op 0
		.amdhsa_exception_fp_denorm_src 0
		.amdhsa_exception_fp_ieee_div_zero 0
		.amdhsa_exception_fp_ieee_overflow 0
		.amdhsa_exception_fp_ieee_underflow 0
		.amdhsa_exception_fp_ieee_inexact 0
		.amdhsa_exception_int_div_zero 0
	.end_amdhsa_kernel
	.section	.text._ZL18flash_attn_ext_f16ILi256ELi256ELi8ELi1ELb0ELb0EEvPKcS1_S1_S1_S1_PKiPfP15HIP_vector_typeIfLj2EEffffjfiS5_IjLj3EEiiiiiiiiiiiliiliiiiil,"axG",@progbits,_ZL18flash_attn_ext_f16ILi256ELi256ELi8ELi1ELb0ELb0EEvPKcS1_S1_S1_S1_PKiPfP15HIP_vector_typeIfLj2EEffffjfiS5_IjLj3EEiiiiiiiiiiiliiliiiiil,comdat
.Lfunc_end29:
	.size	_ZL18flash_attn_ext_f16ILi256ELi256ELi8ELi1ELb0ELb0EEvPKcS1_S1_S1_S1_PKiPfP15HIP_vector_typeIfLj2EEffffjfiS5_IjLj3EEiiiiiiiiiiiliiliiiiil, .Lfunc_end29-_ZL18flash_attn_ext_f16ILi256ELi256ELi8ELi1ELb0ELb0EEvPKcS1_S1_S1_S1_PKiPfP15HIP_vector_typeIfLj2EEffffjfiS5_IjLj3EEiiiiiiiiiiiliiliiiiil
                                        ; -- End function
	.set _ZL18flash_attn_ext_f16ILi256ELi256ELi8ELi1ELb0ELb0EEvPKcS1_S1_S1_S1_PKiPfP15HIP_vector_typeIfLj2EEffffjfiS5_IjLj3EEiiiiiiiiiiiliiliiiiil.num_vgpr, max(0, .L_ZL14no_device_codePKciS0_iS0_.num_vgpr)
	.set _ZL18flash_attn_ext_f16ILi256ELi256ELi8ELi1ELb0ELb0EEvPKcS1_S1_S1_S1_PKiPfP15HIP_vector_typeIfLj2EEffffjfiS5_IjLj3EEiiiiiiiiiiiliiliiiiil.num_agpr, max(0, .L_ZL14no_device_codePKciS0_iS0_.num_agpr)
	.set _ZL18flash_attn_ext_f16ILi256ELi256ELi8ELi1ELb0ELb0EEvPKcS1_S1_S1_S1_PKiPfP15HIP_vector_typeIfLj2EEffffjfiS5_IjLj3EEiiiiiiiiiiiliiliiiiil.numbered_sgpr, max(33, .L_ZL14no_device_codePKciS0_iS0_.numbered_sgpr)
	.set _ZL18flash_attn_ext_f16ILi256ELi256ELi8ELi1ELb0ELb0EEvPKcS1_S1_S1_S1_PKiPfP15HIP_vector_typeIfLj2EEffffjfiS5_IjLj3EEiiiiiiiiiiiliiliiiiil.num_named_barrier, max(0, .L_ZL14no_device_codePKciS0_iS0_.num_named_barrier)
	.set _ZL18flash_attn_ext_f16ILi256ELi256ELi8ELi1ELb0ELb0EEvPKcS1_S1_S1_S1_PKiPfP15HIP_vector_typeIfLj2EEffffjfiS5_IjLj3EEiiiiiiiiiiiliiliiiiil.private_seg_size, 0+max(.L_ZL14no_device_codePKciS0_iS0_.private_seg_size)
	.set _ZL18flash_attn_ext_f16ILi256ELi256ELi8ELi1ELb0ELb0EEvPKcS1_S1_S1_S1_PKiPfP15HIP_vector_typeIfLj2EEffffjfiS5_IjLj3EEiiiiiiiiiiiliiliiiiil.uses_vcc, or(1, .L_ZL14no_device_codePKciS0_iS0_.uses_vcc)
	.set _ZL18flash_attn_ext_f16ILi256ELi256ELi8ELi1ELb0ELb0EEvPKcS1_S1_S1_S1_PKiPfP15HIP_vector_typeIfLj2EEffffjfiS5_IjLj3EEiiiiiiiiiiiliiliiiiil.uses_flat_scratch, or(0, .L_ZL14no_device_codePKciS0_iS0_.uses_flat_scratch)
	.set _ZL18flash_attn_ext_f16ILi256ELi256ELi8ELi1ELb0ELb0EEvPKcS1_S1_S1_S1_PKiPfP15HIP_vector_typeIfLj2EEffffjfiS5_IjLj3EEiiiiiiiiiiiliiliiiiil.has_dyn_sized_stack, or(0, .L_ZL14no_device_codePKciS0_iS0_.has_dyn_sized_stack)
	.set _ZL18flash_attn_ext_f16ILi256ELi256ELi8ELi1ELb0ELb0EEvPKcS1_S1_S1_S1_PKiPfP15HIP_vector_typeIfLj2EEffffjfiS5_IjLj3EEiiiiiiiiiiiliiliiiiil.has_recursion, or(0, .L_ZL14no_device_codePKciS0_iS0_.has_recursion)
	.set _ZL18flash_attn_ext_f16ILi256ELi256ELi8ELi1ELb0ELb0EEvPKcS1_S1_S1_S1_PKiPfP15HIP_vector_typeIfLj2EEffffjfiS5_IjLj3EEiiiiiiiiiiiliiliiiiil.has_indirect_call, or(0, .L_ZL14no_device_codePKciS0_iS0_.has_indirect_call)
	.section	.AMDGPU.csdata,"",@progbits
; Kernel info:
; codeLenInByte = 48
; TotalNumSgprs: 36
; NumVgprs: 40
; ScratchSize: 16
; MemoryBound: 0
; FloatMode: 240
; IeeeMode: 1
; LDSByteSize: 0 bytes/workgroup (compile time only)
; SGPRBlocks: 0
; VGPRBlocks: 4
; NumSGPRsForWavesPerEU: 36
; NumVGPRsForWavesPerEU: 40
; Occupancy: 16
; WaveLimiterHint : 1
; COMPUTE_PGM_RSRC2:SCRATCH_EN: 1
; COMPUTE_PGM_RSRC2:USER_SGPR: 6
; COMPUTE_PGM_RSRC2:TRAP_HANDLER: 0
; COMPUTE_PGM_RSRC2:TGID_X_EN: 1
; COMPUTE_PGM_RSRC2:TGID_Y_EN: 0
; COMPUTE_PGM_RSRC2:TGID_Z_EN: 0
; COMPUTE_PGM_RSRC2:TIDIG_COMP_CNT: 0
	.section	.text._ZL18flash_attn_ext_f16ILi256ELi256ELi8ELi1ELb1ELb0EEvPKcS1_S1_S1_S1_PKiPfP15HIP_vector_typeIfLj2EEffffjfiS5_IjLj3EEiiiiiiiiiiiliiliiiiil,"axG",@progbits,_ZL18flash_attn_ext_f16ILi256ELi256ELi8ELi1ELb1ELb0EEvPKcS1_S1_S1_S1_PKiPfP15HIP_vector_typeIfLj2EEffffjfiS5_IjLj3EEiiiiiiiiiiiliiliiiiil,comdat
	.globl	_ZL18flash_attn_ext_f16ILi256ELi256ELi8ELi1ELb1ELb0EEvPKcS1_S1_S1_S1_PKiPfP15HIP_vector_typeIfLj2EEffffjfiS5_IjLj3EEiiiiiiiiiiiliiliiiiil ; -- Begin function _ZL18flash_attn_ext_f16ILi256ELi256ELi8ELi1ELb1ELb0EEvPKcS1_S1_S1_S1_PKiPfP15HIP_vector_typeIfLj2EEffffjfiS5_IjLj3EEiiiiiiiiiiiliiliiiiil
	.p2align	8
	.type	_ZL18flash_attn_ext_f16ILi256ELi256ELi8ELi1ELb1ELb0EEvPKcS1_S1_S1_S1_PKiPfP15HIP_vector_typeIfLj2EEffffjfiS5_IjLj3EEiiiiiiiiiiiliiliiiiil,@function
_ZL18flash_attn_ext_f16ILi256ELi256ELi8ELi1ELb1ELb0EEvPKcS1_S1_S1_S1_PKiPfP15HIP_vector_typeIfLj2EEffffjfiS5_IjLj3EEiiiiiiiiiiiliiliiiiil: ; @_ZL18flash_attn_ext_f16ILi256ELi256ELi8ELi1ELb1ELb0EEvPKcS1_S1_S1_S1_PKiPfP15HIP_vector_typeIfLj2EEffffjfiS5_IjLj3EEiiiiiiiiiiiliiliiiiil
; %bb.0:
	s_add_u32 s0, s0, s7
	s_addc_u32 s1, s1, 0
	s_add_u32 s8, s4, 0xd0
	s_addc_u32 s9, s5, 0
	s_getpc_b64 s[4:5]
	s_add_u32 s4, s4, _ZL14no_device_codePKciS0_iS0_@rel32@lo+4
	s_addc_u32 s5, s5, _ZL14no_device_codePKciS0_iS0_@rel32@hi+12
	s_mov_b32 s32, 0
	s_swappc_b64 s[30:31], s[4:5]
	.section	.rodata,"a",@progbits
	.p2align	6, 0x0
	.amdhsa_kernel _ZL18flash_attn_ext_f16ILi256ELi256ELi8ELi1ELb1ELb0EEvPKcS1_S1_S1_S1_PKiPfP15HIP_vector_typeIfLj2EEffffjfiS5_IjLj3EEiiiiiiiiiiiliiliiiiil
		.amdhsa_group_segment_fixed_size 0
		.amdhsa_private_segment_fixed_size 16
		.amdhsa_kernarg_size 464
		.amdhsa_user_sgpr_count 6
		.amdhsa_user_sgpr_private_segment_buffer 1
		.amdhsa_user_sgpr_dispatch_ptr 0
		.amdhsa_user_sgpr_queue_ptr 0
		.amdhsa_user_sgpr_kernarg_segment_ptr 1
		.amdhsa_user_sgpr_dispatch_id 0
		.amdhsa_user_sgpr_flat_scratch_init 0
		.amdhsa_user_sgpr_private_segment_size 0
		.amdhsa_wavefront_size32 1
		.amdhsa_uses_dynamic_stack 0
		.amdhsa_system_sgpr_private_segment_wavefront_offset 1
		.amdhsa_system_sgpr_workgroup_id_x 1
		.amdhsa_system_sgpr_workgroup_id_y 0
		.amdhsa_system_sgpr_workgroup_id_z 0
		.amdhsa_system_sgpr_workgroup_info 0
		.amdhsa_system_vgpr_workitem_id 0
		.amdhsa_next_free_vgpr 40
		.amdhsa_next_free_sgpr 34
		.amdhsa_reserve_vcc 1
		.amdhsa_reserve_flat_scratch 0
		.amdhsa_float_round_mode_32 0
		.amdhsa_float_round_mode_16_64 0
		.amdhsa_float_denorm_mode_32 3
		.amdhsa_float_denorm_mode_16_64 3
		.amdhsa_dx10_clamp 1
		.amdhsa_ieee_mode 1
		.amdhsa_fp16_overflow 0
		.amdhsa_workgroup_processor_mode 1
		.amdhsa_memory_ordered 1
		.amdhsa_forward_progress 1
		.amdhsa_shared_vgpr_count 0
		.amdhsa_exception_fp_ieee_invalid_op 0
		.amdhsa_exception_fp_denorm_src 0
		.amdhsa_exception_fp_ieee_div_zero 0
		.amdhsa_exception_fp_ieee_overflow 0
		.amdhsa_exception_fp_ieee_underflow 0
		.amdhsa_exception_fp_ieee_inexact 0
		.amdhsa_exception_int_div_zero 0
	.end_amdhsa_kernel
	.section	.text._ZL18flash_attn_ext_f16ILi256ELi256ELi8ELi1ELb1ELb0EEvPKcS1_S1_S1_S1_PKiPfP15HIP_vector_typeIfLj2EEffffjfiS5_IjLj3EEiiiiiiiiiiiliiliiiiil,"axG",@progbits,_ZL18flash_attn_ext_f16ILi256ELi256ELi8ELi1ELb1ELb0EEvPKcS1_S1_S1_S1_PKiPfP15HIP_vector_typeIfLj2EEffffjfiS5_IjLj3EEiiiiiiiiiiiliiliiiiil,comdat
.Lfunc_end30:
	.size	_ZL18flash_attn_ext_f16ILi256ELi256ELi8ELi1ELb1ELb0EEvPKcS1_S1_S1_S1_PKiPfP15HIP_vector_typeIfLj2EEffffjfiS5_IjLj3EEiiiiiiiiiiiliiliiiiil, .Lfunc_end30-_ZL18flash_attn_ext_f16ILi256ELi256ELi8ELi1ELb1ELb0EEvPKcS1_S1_S1_S1_PKiPfP15HIP_vector_typeIfLj2EEffffjfiS5_IjLj3EEiiiiiiiiiiiliiliiiiil
                                        ; -- End function
	.set _ZL18flash_attn_ext_f16ILi256ELi256ELi8ELi1ELb1ELb0EEvPKcS1_S1_S1_S1_PKiPfP15HIP_vector_typeIfLj2EEffffjfiS5_IjLj3EEiiiiiiiiiiiliiliiiiil.num_vgpr, max(0, .L_ZL14no_device_codePKciS0_iS0_.num_vgpr)
	.set _ZL18flash_attn_ext_f16ILi256ELi256ELi8ELi1ELb1ELb0EEvPKcS1_S1_S1_S1_PKiPfP15HIP_vector_typeIfLj2EEffffjfiS5_IjLj3EEiiiiiiiiiiiliiliiiiil.num_agpr, max(0, .L_ZL14no_device_codePKciS0_iS0_.num_agpr)
	.set _ZL18flash_attn_ext_f16ILi256ELi256ELi8ELi1ELb1ELb0EEvPKcS1_S1_S1_S1_PKiPfP15HIP_vector_typeIfLj2EEffffjfiS5_IjLj3EEiiiiiiiiiiiliiliiiiil.numbered_sgpr, max(33, .L_ZL14no_device_codePKciS0_iS0_.numbered_sgpr)
	.set _ZL18flash_attn_ext_f16ILi256ELi256ELi8ELi1ELb1ELb0EEvPKcS1_S1_S1_S1_PKiPfP15HIP_vector_typeIfLj2EEffffjfiS5_IjLj3EEiiiiiiiiiiiliiliiiiil.num_named_barrier, max(0, .L_ZL14no_device_codePKciS0_iS0_.num_named_barrier)
	.set _ZL18flash_attn_ext_f16ILi256ELi256ELi8ELi1ELb1ELb0EEvPKcS1_S1_S1_S1_PKiPfP15HIP_vector_typeIfLj2EEffffjfiS5_IjLj3EEiiiiiiiiiiiliiliiiiil.private_seg_size, 0+max(.L_ZL14no_device_codePKciS0_iS0_.private_seg_size)
	.set _ZL18flash_attn_ext_f16ILi256ELi256ELi8ELi1ELb1ELb0EEvPKcS1_S1_S1_S1_PKiPfP15HIP_vector_typeIfLj2EEffffjfiS5_IjLj3EEiiiiiiiiiiiliiliiiiil.uses_vcc, or(1, .L_ZL14no_device_codePKciS0_iS0_.uses_vcc)
	.set _ZL18flash_attn_ext_f16ILi256ELi256ELi8ELi1ELb1ELb0EEvPKcS1_S1_S1_S1_PKiPfP15HIP_vector_typeIfLj2EEffffjfiS5_IjLj3EEiiiiiiiiiiiliiliiiiil.uses_flat_scratch, or(0, .L_ZL14no_device_codePKciS0_iS0_.uses_flat_scratch)
	.set _ZL18flash_attn_ext_f16ILi256ELi256ELi8ELi1ELb1ELb0EEvPKcS1_S1_S1_S1_PKiPfP15HIP_vector_typeIfLj2EEffffjfiS5_IjLj3EEiiiiiiiiiiiliiliiiiil.has_dyn_sized_stack, or(0, .L_ZL14no_device_codePKciS0_iS0_.has_dyn_sized_stack)
	.set _ZL18flash_attn_ext_f16ILi256ELi256ELi8ELi1ELb1ELb0EEvPKcS1_S1_S1_S1_PKiPfP15HIP_vector_typeIfLj2EEffffjfiS5_IjLj3EEiiiiiiiiiiiliiliiiiil.has_recursion, or(0, .L_ZL14no_device_codePKciS0_iS0_.has_recursion)
	.set _ZL18flash_attn_ext_f16ILi256ELi256ELi8ELi1ELb1ELb0EEvPKcS1_S1_S1_S1_PKiPfP15HIP_vector_typeIfLj2EEffffjfiS5_IjLj3EEiiiiiiiiiiiliiliiiiil.has_indirect_call, or(0, .L_ZL14no_device_codePKciS0_iS0_.has_indirect_call)
	.section	.AMDGPU.csdata,"",@progbits
; Kernel info:
; codeLenInByte = 48
; TotalNumSgprs: 36
; NumVgprs: 40
; ScratchSize: 16
; MemoryBound: 0
; FloatMode: 240
; IeeeMode: 1
; LDSByteSize: 0 bytes/workgroup (compile time only)
; SGPRBlocks: 0
; VGPRBlocks: 4
; NumSGPRsForWavesPerEU: 36
; NumVGPRsForWavesPerEU: 40
; Occupancy: 16
; WaveLimiterHint : 1
; COMPUTE_PGM_RSRC2:SCRATCH_EN: 1
; COMPUTE_PGM_RSRC2:USER_SGPR: 6
; COMPUTE_PGM_RSRC2:TRAP_HANDLER: 0
; COMPUTE_PGM_RSRC2:TGID_X_EN: 1
; COMPUTE_PGM_RSRC2:TGID_Y_EN: 0
; COMPUTE_PGM_RSRC2:TGID_Z_EN: 0
; COMPUTE_PGM_RSRC2:TIDIG_COMP_CNT: 0
	.section	.text._ZL33flash_attn_stream_k_fixup_uniformILi256ELi8ELi1EEvPfPK15HIP_vector_typeIfLj2EEiiiiiiS1_IjLj3EES5_S5_,"axG",@progbits,_ZL33flash_attn_stream_k_fixup_uniformILi256ELi8ELi1EEvPfPK15HIP_vector_typeIfLj2EEiiiiiiS1_IjLj3EES5_S5_,comdat
	.globl	_ZL33flash_attn_stream_k_fixup_uniformILi256ELi8ELi1EEvPfPK15HIP_vector_typeIfLj2EEiiiiiiS1_IjLj3EES5_S5_ ; -- Begin function _ZL33flash_attn_stream_k_fixup_uniformILi256ELi8ELi1EEvPfPK15HIP_vector_typeIfLj2EEiiiiiiS1_IjLj3EES5_S5_
	.p2align	8
	.type	_ZL33flash_attn_stream_k_fixup_uniformILi256ELi8ELi1EEvPfPK15HIP_vector_typeIfLj2EEiiiiiiS1_IjLj3EES5_S5_,@function
_ZL33flash_attn_stream_k_fixup_uniformILi256ELi8ELi1EEvPfPK15HIP_vector_typeIfLj2EEiiiiiiS1_IjLj3EES5_S5_: ; @_ZL33flash_attn_stream_k_fixup_uniformILi256ELi8ELi1EEvPfPK15HIP_vector_typeIfLj2EEiiiiiiS1_IjLj3EES5_S5_
; %bb.0:
	s_clause 0x2
	s_load_dwordx8 s[12:19], s[4:5], 0x1c
	s_load_dwordx4 s[20:23], s[4:5], 0x3c
	s_load_dwordx2 s[10:11], s[4:5], 0x10
	s_waitcnt lgkmcnt(0)
	s_mul_hi_u32 s0, s15, s6
	s_add_i32 s0, s6, s0
	s_lshr_b32 s0, s0, s16
	s_mul_i32 s1, s0, s17
	s_sub_i32 s2, s6, s1
	s_mul_hi_u32 s1, s2, s18
	s_add_i32 s1, s2, s1
	s_lshr_b32 s1, s1, s19
	s_mul_i32 s3, s1, s20
	s_sub_i32 s2, s2, s3
	s_mul_hi_u32 s3, s2, s21
	s_add_i32 s3, s2, s3
	s_lshr_b32 s9, s3, s22
	s_mul_i32 s3, s9, s23
	s_sub_i32 s15, s2, s3
	s_lshl_b32 s2, s15, 3
	s_add_i32 s2, s2, s7
	s_cmp_lt_i32 s2, s10
	s_cselect_b32 s2, -1, 0
	s_add_i32 s3, s9, s8
	s_cmp_lt_i32 s3, s13
	s_cselect_b32 s3, -1, 0
	s_and_b32 s2, s2, s3
	s_andn2_b32 vcc_lo, exec_lo, s2
	s_cbranch_vccnz .LBB31_6
; %bb.1:
	s_mul_i32 s0, s0, s10
	s_mul_i32 s10, s1, s13
	s_add_i32 s0, s0, s7
	s_mul_i32 s0, s0, s11
	s_add_i32 s13, s0, s8
	s_load_dwordx4 s[0:3], s[4:5], 0x0
	s_add_i32 s4, s13, s10
	s_mul_i32 s5, s11, s15
	s_add_i32 s4, s4, s9
	s_lshl_b32 s5, s5, 11
	s_lshl_b32 s4, s4, 8
	s_add_i32 s8, s7, s8
	s_add_i32 s5, s5, s4
	s_mul_i32 s4, s14, s6
	v_or_b32_e32 v1, s5, v0
	s_add_i32 s9, s4, s14
	v_ashrrev_i32_e32 v2, 31, v1
	v_lshlrev_b64 v[1:2], 2, v[1:2]
	s_waitcnt lgkmcnt(0)
	v_add_co_u32 v1, vcc_lo, s0, v1
	v_add_co_ci_u32_e64 v2, null, s1, v2, vcc_lo
	s_lshl_b32 s0, s9, 3
	s_add_i32 s0, s8, s0
	global_load_dword v5, v[1:2], off
	s_add_i32 s0, s0, -8
	s_ashr_i32 s1, s0, 31
	s_lshl_b64 s[0:1], s[0:1], 3
	s_add_u32 s0, s2, s0
	s_addc_u32 s1, s3, s1
	s_add_i32 s5, s9, -2
	s_load_dword s10, s[0:1], 0x4
	s_cmp_lt_i32 s5, s4
	s_cbranch_scc1 .LBB31_4
; %bb.2:
	s_lshl_b32 s16, s12, 5
	s_load_dword s11, s[0:1], 0x0
	s_ashr_i32 s17, s16, 31
	s_waitcnt lgkmcnt(0)
	v_mov_b32_e32 v6, s10
	s_lshl_b64 s[0:1], s[16:17], 2
	s_add_u32 s5, s2, s0
	s_addc_u32 s7, s3, s1
	s_add_i32 s6, s6, 1
	s_lshl_b32 s1, s8, 8
	s_mul_i32 s0, s14, s6
	s_lshl_b32 s6, s0, 11
	s_lshl_b32 s0, s0, 3
	s_add_i32 s1, s1, s6
	s_add_i32 s0, s8, s0
	v_or_b32_e32 v0, s1, v0
	s_lshl_b32 s1, s12, 3
	s_add_i32 s6, s9, -1
	s_add_i32 s0, s0, s1
	v_add_nc_u32_e32 v3, 0xfffff000, v0
	v_mov_b32_e32 v0, s11
	s_add_i32 s0, s0, -16
.LBB31_3:                               ; =>This Inner Loop Header: Depth=1
	v_ashrrev_i32_e32 v4, 31, v3
	s_ashr_i32 s1, s0, 31
	s_lshl_b64 s[8:9], s[0:1], 3
	s_add_u32 s8, s2, s8
	v_lshlrev_b64 v[7:8], 2, v[3:4]
	s_addc_u32 s9, s3, s9
	v_add_nc_u32_e32 v3, 0xfffff800, v3
	s_add_i32 s6, s6, -1
	s_add_i32 s0, s0, -8
	s_cmp_le_i32 s6, s4
	v_add_co_u32 v7, vcc_lo, s5, v7
	v_add_co_ci_u32_e64 v8, null, s7, v8, vcc_lo
	s_load_dwordx2 s[8:9], s[8:9], 0x0
	global_load_dword v4, v[7:8], off
	v_max_f32_e32 v7, v0, v0
	s_waitcnt lgkmcnt(0)
	v_max_f32_e64 v8, s8, s8
	v_max_f32_e32 v7, v7, v8
	v_sub_f32_e32 v8, s8, v7
	v_sub_f32_e32 v0, v0, v7
	v_mul_f32_e32 v9, 0x3fb8aa3b, v8
	v_mul_f32_e32 v12, 0x3fb8aa3b, v0
	v_cmp_ngt_f32_e32 vcc_lo, 0xc2ce8ed0, v8
	v_fma_f32 v10, 0x3fb8aa3b, v8, -v9
	v_rndne_f32_e32 v11, v9
	v_fma_f32 v13, 0x3fb8aa3b, v0, -v12
	v_rndne_f32_e32 v14, v12
	v_fmac_f32_e32 v10, 0x32a5705f, v8
	v_sub_f32_e32 v9, v9, v11
	v_fmac_f32_e32 v13, 0x32a5705f, v0
	v_cvt_i32_f32_e32 v11, v11
	v_add_f32_e32 v9, v9, v10
	v_sub_f32_e32 v10, v12, v14
	v_exp_f32_e32 v9, v9
	v_add_f32_e32 v10, v10, v13
	v_exp_f32_e32 v10, v10
	v_ldexp_f32 v9, v9, v11
	v_cvt_i32_f32_e32 v11, v14
	v_cndmask_b32_e32 v9, 0, v9, vcc_lo
	v_cmp_nlt_f32_e32 vcc_lo, 0x42b17218, v8
	v_ldexp_f32 v10, v10, v11
	v_mov_b32_e32 v11, v6
	v_cndmask_b32_e32 v9, 0x7f800000, v9, vcc_lo
	v_cmp_ngt_f32_e32 vcc_lo, 0xc2ce8ed0, v0
	v_cndmask_b32_e32 v10, 0, v10, vcc_lo
	v_cmp_le_f32_e32 vcc_lo, 0xc1a00000, v8
	v_cndmask_b32_e32 v8, 0, v9, vcc_lo
	v_cmp_nlt_f32_e32 vcc_lo, 0x42b17218, v0
	s_waitcnt vmcnt(1)
	v_mov_b32_e32 v9, v5
	v_cndmask_b32_e32 v5, 0x7f800000, v10, vcc_lo
	v_mul_f32_e32 v10, s9, v8
	v_cmp_le_f32_e32 vcc_lo, 0xc1a00000, v0
	v_mov_b32_e32 v0, v7
	v_mov_b32_e32 v6, v10
	v_cndmask_b32_e32 v12, 0, v5, vcc_lo
	v_fmac_f32_e32 v6, v11, v12
	s_waitcnt vmcnt(0)
	v_mul_f32_e32 v5, v4, v8
	v_fmac_f32_e32 v5, v9, v12
	s_cbranch_scc0 .LBB31_3
	s_branch .LBB31_5
.LBB31_4:
	s_waitcnt lgkmcnt(0)
	v_mov_b32_e32 v6, s10
.LBB31_5:
	s_waitcnt vmcnt(0)
	v_div_scale_f32 v0, null, v6, v6, v5
	v_rcp_f32_e32 v3, v0
	v_fma_f32 v4, -v0, v3, 1.0
	v_fmac_f32_e32 v3, v4, v3
	v_div_scale_f32 v4, vcc_lo, v5, v6, v5
	v_mul_f32_e32 v7, v4, v3
	v_fma_f32 v8, -v0, v7, v4
	v_fmac_f32_e32 v7, v8, v3
	v_fma_f32 v0, -v0, v7, v4
	v_div_fmas_f32 v0, v0, v3, v7
	v_div_fixup_f32 v0, v0, v6, v5
	global_store_dword v[1:2], v0, off
.LBB31_6:
	s_endpgm
	.section	.rodata,"a",@progbits
	.p2align	6, 0x0
	.amdhsa_kernel _ZL33flash_attn_stream_k_fixup_uniformILi256ELi8ELi1EEvPfPK15HIP_vector_typeIfLj2EEiiiiiiS1_IjLj3EES5_S5_
		.amdhsa_group_segment_fixed_size 0
		.amdhsa_private_segment_fixed_size 0
		.amdhsa_kernarg_size 76
		.amdhsa_user_sgpr_count 6
		.amdhsa_user_sgpr_private_segment_buffer 1
		.amdhsa_user_sgpr_dispatch_ptr 0
		.amdhsa_user_sgpr_queue_ptr 0
		.amdhsa_user_sgpr_kernarg_segment_ptr 1
		.amdhsa_user_sgpr_dispatch_id 0
		.amdhsa_user_sgpr_flat_scratch_init 0
		.amdhsa_user_sgpr_private_segment_size 0
		.amdhsa_wavefront_size32 1
		.amdhsa_uses_dynamic_stack 0
		.amdhsa_system_sgpr_private_segment_wavefront_offset 0
		.amdhsa_system_sgpr_workgroup_id_x 1
		.amdhsa_system_sgpr_workgroup_id_y 1
		.amdhsa_system_sgpr_workgroup_id_z 1
		.amdhsa_system_sgpr_workgroup_info 0
		.amdhsa_system_vgpr_workitem_id 0
		.amdhsa_next_free_vgpr 15
		.amdhsa_next_free_sgpr 24
		.amdhsa_reserve_vcc 1
		.amdhsa_reserve_flat_scratch 0
		.amdhsa_float_round_mode_32 0
		.amdhsa_float_round_mode_16_64 0
		.amdhsa_float_denorm_mode_32 3
		.amdhsa_float_denorm_mode_16_64 3
		.amdhsa_dx10_clamp 1
		.amdhsa_ieee_mode 1
		.amdhsa_fp16_overflow 0
		.amdhsa_workgroup_processor_mode 1
		.amdhsa_memory_ordered 1
		.amdhsa_forward_progress 1
		.amdhsa_shared_vgpr_count 0
		.amdhsa_exception_fp_ieee_invalid_op 0
		.amdhsa_exception_fp_denorm_src 0
		.amdhsa_exception_fp_ieee_div_zero 0
		.amdhsa_exception_fp_ieee_overflow 0
		.amdhsa_exception_fp_ieee_underflow 0
		.amdhsa_exception_fp_ieee_inexact 0
		.amdhsa_exception_int_div_zero 0
	.end_amdhsa_kernel
	.section	.text._ZL33flash_attn_stream_k_fixup_uniformILi256ELi8ELi1EEvPfPK15HIP_vector_typeIfLj2EEiiiiiiS1_IjLj3EES5_S5_,"axG",@progbits,_ZL33flash_attn_stream_k_fixup_uniformILi256ELi8ELi1EEvPfPK15HIP_vector_typeIfLj2EEiiiiiiS1_IjLj3EES5_S5_,comdat
.Lfunc_end31:
	.size	_ZL33flash_attn_stream_k_fixup_uniformILi256ELi8ELi1EEvPfPK15HIP_vector_typeIfLj2EEiiiiiiS1_IjLj3EES5_S5_, .Lfunc_end31-_ZL33flash_attn_stream_k_fixup_uniformILi256ELi8ELi1EEvPfPK15HIP_vector_typeIfLj2EEiiiiiiS1_IjLj3EES5_S5_
                                        ; -- End function
	.set _ZL33flash_attn_stream_k_fixup_uniformILi256ELi8ELi1EEvPfPK15HIP_vector_typeIfLj2EEiiiiiiS1_IjLj3EES5_S5_.num_vgpr, 15
	.set _ZL33flash_attn_stream_k_fixup_uniformILi256ELi8ELi1EEvPfPK15HIP_vector_typeIfLj2EEiiiiiiS1_IjLj3EES5_S5_.num_agpr, 0
	.set _ZL33flash_attn_stream_k_fixup_uniformILi256ELi8ELi1EEvPfPK15HIP_vector_typeIfLj2EEiiiiiiS1_IjLj3EES5_S5_.numbered_sgpr, 24
	.set _ZL33flash_attn_stream_k_fixup_uniformILi256ELi8ELi1EEvPfPK15HIP_vector_typeIfLj2EEiiiiiiS1_IjLj3EES5_S5_.num_named_barrier, 0
	.set _ZL33flash_attn_stream_k_fixup_uniformILi256ELi8ELi1EEvPfPK15HIP_vector_typeIfLj2EEiiiiiiS1_IjLj3EES5_S5_.private_seg_size, 0
	.set _ZL33flash_attn_stream_k_fixup_uniformILi256ELi8ELi1EEvPfPK15HIP_vector_typeIfLj2EEiiiiiiS1_IjLj3EES5_S5_.uses_vcc, 1
	.set _ZL33flash_attn_stream_k_fixup_uniformILi256ELi8ELi1EEvPfPK15HIP_vector_typeIfLj2EEiiiiiiS1_IjLj3EES5_S5_.uses_flat_scratch, 0
	.set _ZL33flash_attn_stream_k_fixup_uniformILi256ELi8ELi1EEvPfPK15HIP_vector_typeIfLj2EEiiiiiiS1_IjLj3EES5_S5_.has_dyn_sized_stack, 0
	.set _ZL33flash_attn_stream_k_fixup_uniformILi256ELi8ELi1EEvPfPK15HIP_vector_typeIfLj2EEiiiiiiS1_IjLj3EES5_S5_.has_recursion, 0
	.set _ZL33flash_attn_stream_k_fixup_uniformILi256ELi8ELi1EEvPfPK15HIP_vector_typeIfLj2EEiiiiiiS1_IjLj3EES5_S5_.has_indirect_call, 0
	.section	.AMDGPU.csdata,"",@progbits
; Kernel info:
; codeLenInByte = 828
; TotalNumSgprs: 26
; NumVgprs: 15
; ScratchSize: 0
; MemoryBound: 0
; FloatMode: 240
; IeeeMode: 1
; LDSByteSize: 0 bytes/workgroup (compile time only)
; SGPRBlocks: 0
; VGPRBlocks: 1
; NumSGPRsForWavesPerEU: 26
; NumVGPRsForWavesPerEU: 15
; Occupancy: 16
; WaveLimiterHint : 0
; COMPUTE_PGM_RSRC2:SCRATCH_EN: 0
; COMPUTE_PGM_RSRC2:USER_SGPR: 6
; COMPUTE_PGM_RSRC2:TRAP_HANDLER: 0
; COMPUTE_PGM_RSRC2:TGID_X_EN: 1
; COMPUTE_PGM_RSRC2:TGID_Y_EN: 1
; COMPUTE_PGM_RSRC2:TGID_Z_EN: 1
; COMPUTE_PGM_RSRC2:TIDIG_COMP_CNT: 0
	.section	.text._ZL33flash_attn_stream_k_fixup_generalILi256ELi8ELi1EEvPfPK15HIP_vector_typeIfLj2EEiiiiS1_IjLj3EES5_S5_S5_,"axG",@progbits,_ZL33flash_attn_stream_k_fixup_generalILi256ELi8ELi1EEvPfPK15HIP_vector_typeIfLj2EEiiiiS1_IjLj3EES5_S5_S5_,comdat
	.globl	_ZL33flash_attn_stream_k_fixup_generalILi256ELi8ELi1EEvPfPK15HIP_vector_typeIfLj2EEiiiiS1_IjLj3EES5_S5_S5_ ; -- Begin function _ZL33flash_attn_stream_k_fixup_generalILi256ELi8ELi1EEvPfPK15HIP_vector_typeIfLj2EEiiiiS1_IjLj3EES5_S5_S5_
	.p2align	8
	.type	_ZL33flash_attn_stream_k_fixup_generalILi256ELi8ELi1EEvPfPK15HIP_vector_typeIfLj2EEiiiiS1_IjLj3EES5_S5_S5_,@function
_ZL33flash_attn_stream_k_fixup_generalILi256ELi8ELi1EEvPfPK15HIP_vector_typeIfLj2EEiiiiS1_IjLj3EES5_S5_S5_: ; @_ZL33flash_attn_stream_k_fixup_generalILi256ELi8ELi1EEvPfPK15HIP_vector_typeIfLj2EEiiiiS1_IjLj3EES5_S5_S5_
; %bb.0:
	s_clause 0x1
	s_load_dwordx4 s[0:3], s[4:5], 0x10
	s_load_dword s9, s[4:5], 0x50
	s_mov_b32 s16, 0
	s_waitcnt lgkmcnt(0)
	s_mul_hi_i32 s17, s3, s6
	s_mul_i32 s18, s3, s6
	s_cmp_lg_u64 s[16:17], 0
	s_cbranch_scc0 .LBB32_21
; %bb.1:
	s_add_u32 s10, s9, 0
	s_addc_u32 s11, 0, 0
	s_xor_b64 s[10:11], s[10:11], 0
	v_cvt_f32_u32_e32 v1, s10
	v_cvt_f32_u32_e32 v2, s11
	s_sub_u32 s14, 0, s10
	s_subb_u32 s15, 0, s11
	v_fmamk_f32 v1, v2, 0x4f800000, v1
	v_rcp_f32_e32 v1, v1
	v_mul_f32_e32 v1, 0x5f7ffffc, v1
	v_mul_f32_e32 v2, 0x2f800000, v1
	v_trunc_f32_e32 v2, v2
	v_fmamk_f32 v1, v2, 0xcf800000, v1
	v_cvt_u32_f32_e32 v2, v2
	v_cvt_u32_f32_e32 v1, v1
	v_readfirstlane_b32 s12, v2
	v_readfirstlane_b32 s13, v1
	s_mul_i32 s19, s14, s12
	s_mul_hi_u32 s21, s14, s13
	s_mul_i32 s20, s15, s13
	s_add_i32 s19, s21, s19
	s_mul_i32 s22, s14, s13
	s_add_i32 s19, s19, s20
	s_mul_hi_u32 s21, s13, s22
	s_mul_i32 s24, s13, s19
	s_mul_hi_u32 s23, s12, s22
	s_mul_i32 s20, s12, s22
	s_mul_hi_u32 s22, s13, s19
	s_add_u32 s21, s21, s24
	s_addc_u32 s22, 0, s22
	s_mul_hi_u32 s25, s12, s19
	s_add_u32 s20, s21, s20
	s_mul_i32 s19, s12, s19
	s_addc_u32 s20, s22, s23
	s_addc_u32 s21, s25, 0
	s_add_u32 s19, s20, s19
	s_addc_u32 s20, 0, s21
	s_add_u32 s13, s13, s19
	s_cselect_b32 s19, -1, 0
	s_mul_hi_u32 s21, s14, s13
	s_cmp_lg_u32 s19, 0
	s_mul_i32 s19, s14, s13
	s_addc_u32 s12, s12, s20
	s_mul_i32 s15, s15, s13
	s_mul_i32 s14, s14, s12
	s_mul_hi_u32 s20, s13, s19
	s_add_i32 s14, s21, s14
	s_mul_hi_u32 s21, s12, s19
	s_add_i32 s14, s14, s15
	s_mul_i32 s15, s12, s19
	s_mul_i32 s23, s13, s14
	s_mul_hi_u32 s22, s13, s14
	s_add_u32 s20, s20, s23
	s_addc_u32 s22, 0, s22
	s_mul_hi_u32 s19, s12, s14
	s_add_u32 s15, s20, s15
	s_mul_i32 s14, s12, s14
	s_addc_u32 s15, s22, s21
	s_addc_u32 s19, s19, 0
	s_add_u32 s14, s15, s14
	s_addc_u32 s15, 0, s19
	s_add_u32 s19, s13, s14
	s_cselect_b32 s13, -1, 0
	s_cmp_lg_u32 s13, 0
	s_addc_u32 s20, s12, s15
	s_ashr_i32 s12, s17, 31
	s_add_u32 s14, s18, s12
	s_mov_b32 s13, s12
	s_addc_u32 s15, s17, s12
	s_xor_b64 s[14:15], s[14:15], s[12:13]
	s_mul_i32 s21, s14, s20
	s_mul_hi_u32 s22, s14, s19
	s_mul_hi_u32 s17, s14, s20
	s_mul_hi_u32 s24, s15, s19
	s_mul_i32 s19, s15, s19
	s_add_u32 s21, s22, s21
	s_addc_u32 s17, 0, s17
	s_mul_hi_u32 s23, s15, s20
	s_add_u32 s19, s21, s19
	s_mul_i32 s20, s15, s20
	s_addc_u32 s17, s17, s24
	s_addc_u32 s19, s23, 0
	s_add_u32 s17, s17, s20
	s_addc_u32 s19, 0, s19
	s_mul_hi_u32 s20, s10, s17
	s_mul_i32 s21, s10, s19
	s_mul_i32 s22, s11, s17
	s_add_i32 s20, s20, s21
	s_mul_i32 s21, s10, s17
	s_add_i32 s20, s20, s22
	s_sub_i32 s22, s15, s20
	s_sub_u32 s14, s14, s21
	s_cselect_b32 s21, -1, 0
	s_cmp_lg_u32 s21, 0
	s_subb_u32 s22, s22, s11
	s_sub_u32 s23, s14, s10
	s_cselect_b32 s24, -1, 0
	s_cmp_lg_u32 s24, 0
	s_subb_u32 s22, s22, 0
	s_cmp_ge_u32 s22, s11
	s_cselect_b32 s24, -1, 0
	s_cmp_ge_u32 s23, s10
	s_cselect_b32 s23, -1, 0
	s_cmp_eq_u32 s22, s11
	s_cselect_b32 s22, s23, s24
	s_add_u32 s23, s17, 1
	s_addc_u32 s24, s19, 0
	s_add_u32 s25, s17, 2
	s_addc_u32 s26, s19, 0
	s_cmp_lg_u32 s22, 0
	s_cselect_b32 s22, s25, s23
	s_cselect_b32 s23, s26, s24
	s_cmp_lg_u32 s21, 0
	s_subb_u32 s15, s15, s20
	s_cmp_ge_u32 s15, s11
	s_cselect_b32 s20, -1, 0
	s_cmp_ge_u32 s14, s10
	s_cselect_b32 s10, -1, 0
	s_cmp_eq_u32 s15, s11
	s_cselect_b32 s10, s10, s20
	s_cmp_lg_u32 s10, 0
	s_cselect_b32 s11, s23, s19
	s_cselect_b32 s10, s22, s17
	s_xor_b64 s[12:13], s[12:13], 0
	s_xor_b64 s[10:11], s[10:11], s[12:13]
	s_sub_u32 s10, s10, s12
	s_load_dwordx4 s[12:15], s[4:5], 0x44
	s_andn2_b32 vcc_lo, exec_lo, s16
	s_cbranch_vccnz .LBB32_3
.LBB32_2:
	v_cvt_f32_u32_e32 v1, s9
	s_sub_i32 s11, 0, s9
	v_rcp_iflag_f32_e32 v1, v1
	v_mul_f32_e32 v1, 0x4f7ffffe, v1
	v_cvt_u32_f32_e32 v1, v1
	v_readfirstlane_b32 s10, v1
	s_mul_i32 s11, s11, s10
	s_mul_hi_u32 s11, s10, s11
	s_add_i32 s10, s10, s11
	s_mul_hi_u32 s10, s18, s10
	s_mul_i32 s11, s10, s9
	s_waitcnt lgkmcnt(0)
	s_add_i32 s15, s10, 1
	s_sub_i32 s11, s18, s11
	s_sub_i32 s16, s11, s9
	s_cmp_ge_u32 s11, s9
	s_cselect_b32 s10, s15, s10
	s_cselect_b32 s11, s16, s11
	s_add_i32 s15, s10, 1
	s_cmp_ge_u32 s11, s9
	s_cselect_b32 s10, s15, s10
.LBB32_3:
	s_add_i32 s11, s6, 1
	s_mov_b32 s16, 0
	s_mul_hi_i32 s17, s3, s11
	s_mul_i32 s11, s3, s11
	s_cmp_lg_u64 s[16:17], 0
	s_cbranch_scc0 .LBB32_22
; %bb.4:
	s_add_u32 s18, s9, 0
	s_addc_u32 s19, 0, 0
	s_xor_b64 s[18:19], s[18:19], 0
	v_cvt_f32_u32_e32 v1, s18
	v_cvt_f32_u32_e32 v2, s19
	s_sub_u32 s21, 0, s18
	s_subb_u32 s22, 0, s19
	v_fmamk_f32 v1, v2, 0x4f800000, v1
	v_rcp_f32_e32 v1, v1
	v_mul_f32_e32 v1, 0x5f7ffffc, v1
	v_mul_f32_e32 v2, 0x2f800000, v1
	v_trunc_f32_e32 v2, v2
	v_fmamk_f32 v1, v2, 0xcf800000, v1
	v_cvt_u32_f32_e32 v2, v2
	v_cvt_u32_f32_e32 v1, v1
	s_waitcnt lgkmcnt(0)
	v_readfirstlane_b32 s15, v2
	v_readfirstlane_b32 s20, v1
	s_mul_i32 s23, s21, s15
	s_mul_hi_u32 s25, s21, s20
	s_mul_i32 s24, s22, s20
	s_add_i32 s23, s25, s23
	s_mul_i32 s26, s21, s20
	s_add_i32 s23, s23, s24
	s_mul_hi_u32 s25, s20, s26
	s_mul_i32 s28, s20, s23
	s_mul_hi_u32 s27, s15, s26
	s_mul_i32 s24, s15, s26
	s_mul_hi_u32 s26, s20, s23
	s_add_u32 s25, s25, s28
	s_addc_u32 s26, 0, s26
	s_mul_hi_u32 s29, s15, s23
	s_add_u32 s24, s25, s24
	s_mul_i32 s23, s15, s23
	s_addc_u32 s24, s26, s27
	s_addc_u32 s25, s29, 0
	s_add_u32 s23, s24, s23
	s_addc_u32 s24, 0, s25
	s_add_u32 s20, s20, s23
	s_cselect_b32 s23, -1, 0
	s_mul_hi_u32 s25, s21, s20
	s_cmp_lg_u32 s23, 0
	s_mul_i32 s23, s21, s20
	s_addc_u32 s15, s15, s24
	s_mul_i32 s22, s22, s20
	s_mul_i32 s21, s21, s15
	s_mul_hi_u32 s24, s20, s23
	s_add_i32 s21, s25, s21
	s_mul_hi_u32 s25, s15, s23
	s_add_i32 s21, s21, s22
	s_mul_i32 s22, s15, s23
	s_mul_i32 s27, s20, s21
	s_mul_hi_u32 s26, s20, s21
	s_add_u32 s24, s24, s27
	s_addc_u32 s26, 0, s26
	s_mul_hi_u32 s23, s15, s21
	s_add_u32 s22, s24, s22
	s_mul_i32 s21, s15, s21
	s_addc_u32 s22, s26, s25
	s_addc_u32 s23, s23, 0
	s_add_u32 s21, s22, s21
	s_addc_u32 s22, 0, s23
	s_add_u32 s24, s20, s21
	s_cselect_b32 s20, -1, 0
	s_cmp_lg_u32 s20, 0
	s_addc_u32 s15, s15, s22
	s_ashr_i32 s20, s17, 31
	s_add_u32 s22, s11, s20
	s_mov_b32 s21, s20
	s_addc_u32 s23, s17, s20
	s_xor_b64 s[22:23], s[22:23], s[20:21]
	s_mul_i32 s25, s22, s15
	s_mul_hi_u32 s26, s22, s24
	s_mul_hi_u32 s17, s22, s15
	;; [unrolled: 1-line block ×3, first 2 shown]
	s_mul_i32 s24, s23, s24
	s_add_u32 s25, s26, s25
	s_addc_u32 s17, 0, s17
	s_mul_hi_u32 s27, s23, s15
	s_add_u32 s24, s25, s24
	s_mul_i32 s15, s23, s15
	s_addc_u32 s17, s17, s28
	s_addc_u32 s24, s27, 0
	s_add_u32 s15, s17, s15
	s_addc_u32 s17, 0, s24
	s_mul_hi_u32 s24, s18, s15
	s_mul_i32 s25, s18, s17
	s_mul_i32 s26, s19, s15
	s_add_i32 s24, s24, s25
	s_mul_i32 s25, s18, s15
	s_add_i32 s24, s24, s26
	s_sub_i32 s26, s23, s24
	s_sub_u32 s22, s22, s25
	s_cselect_b32 s25, -1, 0
	s_cmp_lg_u32 s25, 0
	s_subb_u32 s26, s26, s19
	s_sub_u32 s27, s22, s18
	s_cselect_b32 s28, -1, 0
	s_cmp_lg_u32 s28, 0
	s_subb_u32 s26, s26, 0
	s_cmp_ge_u32 s26, s19
	s_cselect_b32 s28, -1, 0
	s_cmp_ge_u32 s27, s18
	s_cselect_b32 s27, -1, 0
	s_cmp_eq_u32 s26, s19
	s_cselect_b32 s26, s27, s28
	s_add_u32 s27, s15, 1
	s_addc_u32 s28, s17, 0
	s_add_u32 s29, s15, 2
	s_addc_u32 s30, s17, 0
	s_cmp_lg_u32 s26, 0
	s_cselect_b32 s26, s29, s27
	s_cselect_b32 s27, s30, s28
	s_cmp_lg_u32 s25, 0
	s_subb_u32 s23, s23, s24
	s_cmp_ge_u32 s23, s19
	s_cselect_b32 s24, -1, 0
	s_cmp_ge_u32 s22, s18
	s_cselect_b32 s18, -1, 0
	s_cmp_eq_u32 s23, s19
	s_cselect_b32 s18, s18, s24
	s_cmp_lg_u32 s18, 0
	s_cselect_b32 s19, s27, s17
	s_cselect_b32 s18, s26, s15
	s_xor_b64 s[20:21], s[20:21], 0
	s_xor_b64 s[18:19], s[18:19], s[20:21]
	s_sub_u32 s18, s18, s20
	s_andn2_b32 vcc_lo, exec_lo, s16
	s_cbranch_vccnz .LBB32_6
.LBB32_5:
	v_cvt_f32_u32_e32 v1, s9
	s_sub_i32 s16, 0, s9
	v_rcp_iflag_f32_e32 v1, v1
	v_mul_f32_e32 v1, 0x4f7ffffe, v1
	v_cvt_u32_f32_e32 v1, v1
	s_waitcnt lgkmcnt(0)
	v_readfirstlane_b32 s15, v1
	s_mul_i32 s16, s16, s15
	s_mul_hi_u32 s16, s15, s16
	s_add_i32 s15, s15, s16
	s_mul_hi_u32 s15, s11, s15
	s_mul_i32 s16, s15, s9
	s_sub_i32 s11, s11, s16
	s_add_i32 s16, s15, 1
	s_sub_i32 s17, s11, s9
	s_cmp_ge_u32 s11, s9
	s_cselect_b32 s15, s16, s15
	s_cselect_b32 s11, s17, s11
	s_add_i32 s16, s15, 1
	s_cmp_ge_u32 s11, s9
	s_cselect_b32 s18, s16, s15
.LBB32_6:
	s_cmp_eq_u32 s10, s18
	s_waitcnt lgkmcnt(0)
	s_mul_hi_u32 s11, s10, s12
	s_cselect_b32 s15, -1, 0
	s_add_i32 s11, s11, s10
	s_lshr_b32 s11, s11, s13
	s_mul_i32 s16, s11, s14
	s_cmp_eq_u32 s16, s10
	s_mul_hi_u32 s16, s18, s12
	s_cselect_b32 s17, -1, 0
	s_add_i32 s16, s16, s18
	s_lshr_b32 s16, s16, s13
	s_cmp_eq_u32 s11, s16
	s_mul_i32 s16, s16, s14
	s_cselect_b32 s19, -1, 0
	s_cmp_lg_u32 s16, s18
	s_cselect_b32 s16, -1, 0
	s_or_b32 s15, s15, s17
	s_and_b32 s16, s19, s16
	s_or_b32 s15, s15, s16
	s_and_b32 vcc_lo, exec_lo, s15
	s_cbranch_vccnz .LBB32_24
; %bb.7:
	s_load_dwordx8 s[20:27], s[4:5], 0x20
	s_waitcnt lgkmcnt(0)
	s_mul_hi_u32 s15, s10, s20
	s_add_i32 s15, s15, s10
	s_lshr_b32 s20, s15, s21
	s_load_dword s15, s[4:5], 0x40
	s_mul_i32 s16, s20, s22
	s_sub_i32 s16, s10, s16
	s_mul_hi_u32 s17, s16, s23
	s_add_i32 s17, s16, s17
	s_lshr_b32 s22, s17, s24
	s_mul_i32 s17, s22, s25
	s_sub_i32 s16, s16, s17
	s_mul_hi_u32 s17, s16, s26
	s_add_i32 s17, s16, s17
	s_lshr_b32 s23, s17, s27
	s_waitcnt lgkmcnt(0)
	s_mul_i32 s15, s23, s15
	s_sub_i32 s15, s16, s15
	s_mul_hi_u32 s16, s15, s12
	s_add_i32 s15, s15, s16
	s_lshr_b32 s24, s15, s13
	s_lshl_b32 s15, s24, 3
	s_add_i32 s15, s15, s7
	s_cmp_lt_i32 s15, s0
	s_cselect_b32 s15, -1, 0
	s_add_i32 s16, s23, s8
	s_cmp_lt_i32 s16, s2
	s_cselect_b32 s16, -1, 0
	s_and_b32 s15, s15, s16
	s_andn2_b32 vcc_lo, exec_lo, s15
	s_cbranch_vccnz .LBB32_24
; %bb.8:
	s_load_dwordx4 s[16:19], s[4:5], 0x0
	s_mov_b32 s4, 0
	s_lshl_b32 s26, s9, 5
	s_mov_b32 s27, s4
	s_add_i32 s15, s7, s8
	s_lshl_b64 s[26:27], s[26:27], 2
	s_mul_i32 s0, s20, s0
	s_mul_i32 s22, s22, s2
	v_cvt_f32_u32_e32 v4, s9
	v_rcp_iflag_f32_e32 v4, v4
	s_waitcnt lgkmcnt(0)
	s_add_u32 s20, s18, s26
	s_addc_u32 s21, s19, s27
	s_add_i32 s0, s0, s7
	v_mul_f32_e32 v4, 0x4f7ffffe, v4
	s_mul_i32 s0, s0, s1
	s_mul_i32 s1, s1, s24
	s_add_i32 s0, s0, s8
	s_lshl_b32 s1, s1, 11
	s_add_i32 s0, s0, s22
	v_cvt_u32_f32_e32 v4, v4
	s_add_i32 s0, s0, s23
	s_lshl_b32 s0, s0, 8
	s_add_i32 s1, s1, s0
	s_lshl_b32 s0, s6, 3
	v_or_b32_e32 v1, s1, v0
	s_add_i32 s0, s0, s15
	v_lshl_or_b32 v0, s15, 8, v0
	s_ashr_i32 s1, s0, 31
	v_ashrrev_i32_e32 v2, 31, v1
	s_lshl_b64 s[0:1], s[0:1], 3
	s_add_u32 s0, s18, s0
	s_addc_u32 s1, s19, s1
	v_lshlrev_b64 v[1:2], 2, v[1:2]
	s_load_dwordx2 s[0:1], s[0:1], 0x0
	s_add_i32 s8, s6, -1
	s_sub_i32 s2, 0, s9
	v_add_co_u32 v1, vcc_lo, s16, v1
	v_add_co_ci_u32_e64 v2, null, s17, v2, vcc_lo
	global_load_dword v3, v[1:2], off
	s_waitcnt lgkmcnt(0)
	v_mov_b32_e32 v5, s1
	v_mov_b32_e32 v6, s0
.LBB32_9:                               ; =>This Inner Loop Header: Depth=1
	s_mul_hi_i32 s5, s8, s3
	s_mul_i32 s6, s8, s3
	s_cmp_lg_u64 s[4:5], 0
	s_mov_b32 s7, -1
                                        ; implicit-def: $sgpr0_sgpr1
	s_cbranch_scc0 .LBB32_11
; %bb.10:                               ;   in Loop: Header=BB32_9 Depth=1
	s_add_u32 s0, s9, 0
	s_addc_u32 s1, 0, 0
	s_xor_b64 s[0:1], s[0:1], 0
	v_cvt_f32_u32_e32 v7, s0
	v_cvt_f32_u32_e32 v8, s1
	s_sub_u32 s17, 0, s0
	s_subb_u32 s22, 0, s1
	v_fmac_f32_e32 v7, 0x4f800000, v8
	v_rcp_f32_e32 v7, v7
	v_mul_f32_e32 v7, 0x5f7ffffc, v7
	v_mul_f32_e32 v8, 0x2f800000, v7
	v_trunc_f32_e32 v8, v8
	v_fmac_f32_e32 v7, 0xcf800000, v8
	v_cvt_u32_f32_e32 v8, v8
	v_cvt_u32_f32_e32 v7, v7
	v_readfirstlane_b32 s7, v8
	v_readfirstlane_b32 s16, v7
	s_mul_i32 s23, s17, s7
	s_mul_hi_u32 s25, s17, s16
	s_mul_i32 s24, s22, s16
	s_add_i32 s23, s25, s23
	s_mul_i32 s26, s17, s16
	s_add_i32 s23, s23, s24
	s_mul_hi_u32 s25, s16, s26
	s_mul_i32 s28, s16, s23
	s_mul_hi_u32 s27, s7, s26
	s_mul_i32 s24, s7, s26
	s_mul_hi_u32 s26, s16, s23
	s_add_u32 s25, s25, s28
	s_addc_u32 s26, 0, s26
	s_mul_hi_u32 s29, s7, s23
	s_add_u32 s24, s25, s24
	s_mul_i32 s23, s7, s23
	s_addc_u32 s24, s26, s27
	s_addc_u32 s25, s29, 0
	s_add_u32 s23, s24, s23
	s_addc_u32 s24, 0, s25
	s_add_u32 s16, s16, s23
	s_cselect_b32 s23, -1, 0
	s_mul_hi_u32 s25, s17, s16
	s_cmp_lg_u32 s23, 0
	s_mul_i32 s23, s17, s16
	s_addc_u32 s7, s7, s24
	s_mul_i32 s22, s22, s16
	s_mul_i32 s17, s17, s7
	s_mul_hi_u32 s24, s16, s23
	s_add_i32 s17, s25, s17
	s_mul_hi_u32 s25, s7, s23
	s_add_i32 s17, s17, s22
	s_mul_i32 s22, s7, s23
	s_mul_i32 s27, s16, s17
	s_mul_hi_u32 s26, s16, s17
	s_add_u32 s24, s24, s27
	s_addc_u32 s26, 0, s26
	s_mul_hi_u32 s23, s7, s17
	s_add_u32 s22, s24, s22
	s_mul_i32 s17, s7, s17
	s_addc_u32 s22, s26, s25
	s_addc_u32 s23, s23, 0
	s_add_u32 s17, s22, s17
	s_addc_u32 s22, 0, s23
	s_add_u32 s24, s16, s17
	s_cselect_b32 s16, -1, 0
	s_cmp_lg_u32 s16, 0
	s_addc_u32 s7, s7, s22
	s_ashr_i32 s16, s5, 31
	s_add_u32 s22, s6, s16
	s_mov_b32 s17, s16
	s_addc_u32 s23, s5, s16
	s_xor_b64 s[22:23], s[22:23], s[16:17]
	s_mul_i32 s25, s22, s7
	s_mul_hi_u32 s26, s22, s24
	s_mul_hi_u32 s5, s22, s7
	;; [unrolled: 1-line block ×3, first 2 shown]
	s_mul_i32 s24, s23, s24
	s_add_u32 s25, s26, s25
	s_addc_u32 s5, 0, s5
	s_mul_hi_u32 s27, s23, s7
	s_add_u32 s24, s25, s24
	s_mul_i32 s7, s23, s7
	s_addc_u32 s5, s5, s28
	s_addc_u32 s24, s27, 0
	s_add_u32 s5, s5, s7
	s_addc_u32 s7, 0, s24
	s_mul_hi_u32 s24, s0, s5
	s_mul_i32 s25, s0, s7
	s_mul_i32 s26, s1, s5
	s_add_i32 s24, s24, s25
	s_mul_i32 s25, s0, s5
	s_add_i32 s24, s24, s26
	s_sub_i32 s26, s23, s24
	s_sub_u32 s22, s22, s25
	s_cselect_b32 s25, -1, 0
	s_cmp_lg_u32 s25, 0
	s_subb_u32 s26, s26, s1
	s_sub_u32 s27, s22, s0
	s_cselect_b32 s28, -1, 0
	s_cmp_lg_u32 s28, 0
	s_subb_u32 s26, s26, 0
	s_cmp_ge_u32 s26, s1
	s_cselect_b32 s28, -1, 0
	s_cmp_ge_u32 s27, s0
	s_cselect_b32 s27, -1, 0
	s_cmp_eq_u32 s26, s1
	s_cselect_b32 s26, s27, s28
	s_add_u32 s27, s5, 1
	s_addc_u32 s28, s7, 0
	s_add_u32 s29, s5, 2
	s_addc_u32 s30, s7, 0
	s_cmp_lg_u32 s26, 0
	s_cselect_b32 s26, s29, s27
	s_cselect_b32 s27, s30, s28
	s_cmp_lg_u32 s25, 0
	s_subb_u32 s23, s23, s24
	s_cmp_ge_u32 s23, s1
	s_cselect_b32 s24, -1, 0
	s_cmp_ge_u32 s22, s0
	s_cselect_b32 s0, -1, 0
	s_cmp_eq_u32 s23, s1
	s_cselect_b32 s0, s0, s24
	s_cmp_lg_u32 s0, 0
	s_cselect_b32 s1, s27, s7
	s_cselect_b32 s0, s26, s5
	s_xor_b64 s[16:17], s[16:17], 0
	s_mov_b32 s7, 0
	s_xor_b64 s[0:1], s[0:1], s[16:17]
	s_sub_u32 s0, s0, s16
.LBB32_11:                              ;   in Loop: Header=BB32_9 Depth=1
	s_andn2_b32 vcc_lo, exec_lo, s7
	s_cbranch_vccnz .LBB32_13
; %bb.12:                               ;   in Loop: Header=BB32_9 Depth=1
	v_readfirstlane_b32 s0, v4
	s_mul_i32 s1, s2, s0
	s_mul_hi_u32 s1, s0, s1
	s_add_i32 s0, s0, s1
	s_mul_hi_u32 s0, s6, s0
	s_mul_i32 s1, s0, s9
	s_add_i32 s5, s0, 1
	s_sub_i32 s1, s6, s1
	s_sub_i32 s6, s1, s9
	s_cmp_ge_u32 s1, s9
	s_cselect_b32 s0, s5, s0
	s_cselect_b32 s1, s6, s1
	s_add_i32 s5, s0, 1
	s_cmp_ge_u32 s1, s9
	s_cselect_b32 s0, s5, s0
.LBB32_13:                              ;   in Loop: Header=BB32_9 Depth=1
	s_cmp_lg_u32 s10, s0
	s_mov_b32 s6, -1
                                        ; implicit-def: $sgpr5
                                        ; implicit-def: $vgpr8
                                        ; implicit-def: $vgpr7
                                        ; implicit-def: $vgpr9
                                        ; implicit-def: $sgpr1
                                        ; implicit-def: $sgpr16
	s_cbranch_scc0 .LBB32_18
; %bb.14:                               ;   in Loop: Header=BB32_9 Depth=1
	s_add_i32 s1, s8, s9
	s_mov_b32 s7, s4
	s_lshl_b32 s1, s1, 3
	s_mov_b32 s16, s10
	s_add_i32 s6, s1, s15
	s_mul_hi_u32 s1, s0, s12
	s_lshl_b64 s[6:7], s[6:7], 3
	s_add_u32 s6, s18, s6
	s_addc_u32 s7, s19, s7
	s_add_i32 s1, s1, s0
	s_lshr_b32 s1, s1, s13
	s_mul_i32 s5, s1, s14
	s_cmp_eq_u32 s5, s0
	s_cselect_b32 s5, -1, 0
	s_cmp_lt_u32 s1, s11
	s_cselect_b32 s1, -1, 0
	s_or_b32 s1, s1, s5
	s_mov_b32 s5, -1
	s_and_b32 vcc_lo, exec_lo, s1
	s_mov_b32 s1, s8
	s_cbranch_vccnz .LBB32_16
; %bb.15:                               ;   in Loop: Header=BB32_9 Depth=1
	s_add_i32 s1, s8, -1
	s_mov_b32 s5, 0
	s_mov_b32 s16, s0
.LBB32_16:                              ;   in Loop: Header=BB32_9 Depth=1
	v_lshl_add_u32 v7, s8, 11, v0
	s_load_dwordx2 s[6:7], s[6:7], 0x0
	v_ashrrev_i32_e32 v8, 31, v7
	v_lshlrev_b64 v[7:8], 2, v[7:8]
	v_add_co_u32 v7, vcc_lo, s20, v7
	v_add_co_ci_u32_e64 v8, null, s21, v8, vcc_lo
	s_waitcnt lgkmcnt(0)
	v_max_f32_e64 v9, s6, s6
	global_load_dword v8, v[7:8], off
	v_max_f32_e32 v7, v6, v6
	v_max_f32_e32 v7, v7, v9
	v_sub_f32_e32 v9, s6, v7
	v_sub_f32_e32 v10, v6, v7
	v_mul_f32_e32 v11, 0x3fb8aa3b, v9
	v_mul_f32_e32 v12, 0x3fb8aa3b, v10
	v_cmp_ngt_f32_e32 vcc_lo, 0xc2ce8ed0, v9
	v_fma_f32 v13, 0x3fb8aa3b, v9, -v11
	v_rndne_f32_e32 v14, v11
	v_fma_f32 v15, 0x3fb8aa3b, v10, -v12
	v_rndne_f32_e32 v16, v12
	v_fmac_f32_e32 v13, 0x32a5705f, v9
	v_sub_f32_e32 v11, v11, v14
	v_fmac_f32_e32 v15, 0x32a5705f, v10
	v_sub_f32_e32 v12, v12, v16
	v_add_f32_e32 v11, v11, v13
	v_cvt_i32_f32_e32 v13, v14
	v_add_f32_e32 v12, v12, v15
	v_cvt_i32_f32_e32 v14, v16
	v_exp_f32_e32 v11, v11
	v_exp_f32_e32 v12, v12
	v_ldexp_f32 v11, v11, v13
	v_ldexp_f32 v12, v12, v14
	v_cndmask_b32_e32 v11, 0, v11, vcc_lo
	v_cmp_ngt_f32_e32 vcc_lo, 0xc2ce8ed0, v10
	v_cndmask_b32_e32 v12, 0, v12, vcc_lo
	v_cmp_nlt_f32_e32 vcc_lo, 0x42b17218, v9
	v_cndmask_b32_e32 v11, 0x7f800000, v11, vcc_lo
	v_cmp_nlt_f32_e32 vcc_lo, 0x42b17218, v10
	v_cndmask_b32_e32 v12, 0x7f800000, v12, vcc_lo
	v_cmp_le_f32_e32 vcc_lo, 0xc1a00000, v9
	v_cndmask_b32_e32 v9, 0, v11, vcc_lo
	v_cmp_le_f32_e32 vcc_lo, 0xc1a00000, v10
	v_cndmask_b32_e32 v10, 0, v12, vcc_lo
	s_waitcnt vmcnt(0)
	v_mul_f32_e32 v8, v8, v9
	v_mul_f32_e32 v9, s7, v9
	v_fmac_f32_e32 v8, v3, v10
	v_fmac_f32_e32 v9, v5, v10
	s_cbranch_execz .LBB32_19
.LBB32_17:                              ;   in Loop: Header=BB32_9 Depth=1
	s_andn2_b32 vcc_lo, exec_lo, s5
	s_cbranch_vccnz .LBB32_20
	s_branch .LBB32_23
.LBB32_18:                              ;   in Loop: Header=BB32_9 Depth=1
	s_andn2_b32 vcc_lo, exec_lo, s6
	s_cbranch_vccnz .LBB32_17
.LBB32_19:                              ;   in Loop: Header=BB32_9 Depth=1
	v_mov_b32_e32 v9, v5
	v_mov_b32_e32 v7, v6
	s_waitcnt vmcnt(0)
	v_mov_b32_e32 v8, v3
	s_add_i32 s1, s8, -1
	s_mov_b32 s16, s10
	s_cbranch_execz .LBB32_23
.LBB32_20:                              ;   in Loop: Header=BB32_9 Depth=1
	v_mov_b32_e32 v5, v9
	v_mov_b32_e32 v6, v7
	s_waitcnt vmcnt(0)
	v_mov_b32_e32 v3, v8
	s_mov_b32 s10, s16
	s_mov_b32 s8, s1
	s_branch .LBB32_9
.LBB32_21:
                                        ; implicit-def: $sgpr10_sgpr11
	s_load_dwordx4 s[12:15], s[4:5], 0x44
	s_branch .LBB32_2
.LBB32_22:
                                        ; implicit-def: $sgpr18_sgpr19
	s_branch .LBB32_5
.LBB32_23:
	v_div_scale_f32 v0, null, v9, v9, v8
	s_waitcnt vmcnt(0)
	v_rcp_f32_e32 v3, v0
	v_fma_f32 v4, -v0, v3, 1.0
	v_fmac_f32_e32 v3, v4, v3
	v_div_scale_f32 v4, vcc_lo, v8, v9, v8
	v_mul_f32_e32 v5, v4, v3
	v_fma_f32 v6, -v0, v5, v4
	v_fmac_f32_e32 v5, v6, v3
	v_fma_f32 v0, -v0, v5, v4
	v_div_fmas_f32 v0, v0, v3, v5
	v_div_fixup_f32 v0, v0, v9, v8
	global_store_dword v[1:2], v0, off
.LBB32_24:
	s_endpgm
	.section	.rodata,"a",@progbits
	.p2align	6, 0x0
	.amdhsa_kernel _ZL33flash_attn_stream_k_fixup_generalILi256ELi8ELi1EEvPfPK15HIP_vector_typeIfLj2EEiiiiS1_IjLj3EES5_S5_S5_
		.amdhsa_group_segment_fixed_size 0
		.amdhsa_private_segment_fixed_size 0
		.amdhsa_kernarg_size 336
		.amdhsa_user_sgpr_count 6
		.amdhsa_user_sgpr_private_segment_buffer 1
		.amdhsa_user_sgpr_dispatch_ptr 0
		.amdhsa_user_sgpr_queue_ptr 0
		.amdhsa_user_sgpr_kernarg_segment_ptr 1
		.amdhsa_user_sgpr_dispatch_id 0
		.amdhsa_user_sgpr_flat_scratch_init 0
		.amdhsa_user_sgpr_private_segment_size 0
		.amdhsa_wavefront_size32 1
		.amdhsa_uses_dynamic_stack 0
		.amdhsa_system_sgpr_private_segment_wavefront_offset 0
		.amdhsa_system_sgpr_workgroup_id_x 1
		.amdhsa_system_sgpr_workgroup_id_y 1
		.amdhsa_system_sgpr_workgroup_id_z 1
		.amdhsa_system_sgpr_workgroup_info 0
		.amdhsa_system_vgpr_workitem_id 0
		.amdhsa_next_free_vgpr 17
		.amdhsa_next_free_sgpr 31
		.amdhsa_reserve_vcc 1
		.amdhsa_reserve_flat_scratch 0
		.amdhsa_float_round_mode_32 0
		.amdhsa_float_round_mode_16_64 0
		.amdhsa_float_denorm_mode_32 3
		.amdhsa_float_denorm_mode_16_64 3
		.amdhsa_dx10_clamp 1
		.amdhsa_ieee_mode 1
		.amdhsa_fp16_overflow 0
		.amdhsa_workgroup_processor_mode 1
		.amdhsa_memory_ordered 1
		.amdhsa_forward_progress 1
		.amdhsa_shared_vgpr_count 0
		.amdhsa_exception_fp_ieee_invalid_op 0
		.amdhsa_exception_fp_denorm_src 0
		.amdhsa_exception_fp_ieee_div_zero 0
		.amdhsa_exception_fp_ieee_overflow 0
		.amdhsa_exception_fp_ieee_underflow 0
		.amdhsa_exception_fp_ieee_inexact 0
		.amdhsa_exception_int_div_zero 0
	.end_amdhsa_kernel
	.section	.text._ZL33flash_attn_stream_k_fixup_generalILi256ELi8ELi1EEvPfPK15HIP_vector_typeIfLj2EEiiiiS1_IjLj3EES5_S5_S5_,"axG",@progbits,_ZL33flash_attn_stream_k_fixup_generalILi256ELi8ELi1EEvPfPK15HIP_vector_typeIfLj2EEiiiiS1_IjLj3EES5_S5_S5_,comdat
.Lfunc_end32:
	.size	_ZL33flash_attn_stream_k_fixup_generalILi256ELi8ELi1EEvPfPK15HIP_vector_typeIfLj2EEiiiiS1_IjLj3EES5_S5_S5_, .Lfunc_end32-_ZL33flash_attn_stream_k_fixup_generalILi256ELi8ELi1EEvPfPK15HIP_vector_typeIfLj2EEiiiiS1_IjLj3EES5_S5_S5_
                                        ; -- End function
	.set _ZL33flash_attn_stream_k_fixup_generalILi256ELi8ELi1EEvPfPK15HIP_vector_typeIfLj2EEiiiiS1_IjLj3EES5_S5_S5_.num_vgpr, 17
	.set _ZL33flash_attn_stream_k_fixup_generalILi256ELi8ELi1EEvPfPK15HIP_vector_typeIfLj2EEiiiiS1_IjLj3EES5_S5_S5_.num_agpr, 0
	.set _ZL33flash_attn_stream_k_fixup_generalILi256ELi8ELi1EEvPfPK15HIP_vector_typeIfLj2EEiiiiS1_IjLj3EES5_S5_S5_.numbered_sgpr, 31
	.set _ZL33flash_attn_stream_k_fixup_generalILi256ELi8ELi1EEvPfPK15HIP_vector_typeIfLj2EEiiiiS1_IjLj3EES5_S5_S5_.num_named_barrier, 0
	.set _ZL33flash_attn_stream_k_fixup_generalILi256ELi8ELi1EEvPfPK15HIP_vector_typeIfLj2EEiiiiS1_IjLj3EES5_S5_S5_.private_seg_size, 0
	.set _ZL33flash_attn_stream_k_fixup_generalILi256ELi8ELi1EEvPfPK15HIP_vector_typeIfLj2EEiiiiS1_IjLj3EES5_S5_S5_.uses_vcc, 1
	.set _ZL33flash_attn_stream_k_fixup_generalILi256ELi8ELi1EEvPfPK15HIP_vector_typeIfLj2EEiiiiS1_IjLj3EES5_S5_S5_.uses_flat_scratch, 0
	.set _ZL33flash_attn_stream_k_fixup_generalILi256ELi8ELi1EEvPfPK15HIP_vector_typeIfLj2EEiiiiS1_IjLj3EES5_S5_S5_.has_dyn_sized_stack, 0
	.set _ZL33flash_attn_stream_k_fixup_generalILi256ELi8ELi1EEvPfPK15HIP_vector_typeIfLj2EEiiiiS1_IjLj3EES5_S5_S5_.has_recursion, 0
	.set _ZL33flash_attn_stream_k_fixup_generalILi256ELi8ELi1EEvPfPK15HIP_vector_typeIfLj2EEiiiiS1_IjLj3EES5_S5_S5_.has_indirect_call, 0
	.section	.AMDGPU.csdata,"",@progbits
; Kernel info:
; codeLenInByte = 2936
; TotalNumSgprs: 33
; NumVgprs: 17
; ScratchSize: 0
; MemoryBound: 0
; FloatMode: 240
; IeeeMode: 1
; LDSByteSize: 0 bytes/workgroup (compile time only)
; SGPRBlocks: 0
; VGPRBlocks: 2
; NumSGPRsForWavesPerEU: 33
; NumVGPRsForWavesPerEU: 17
; Occupancy: 16
; WaveLimiterHint : 0
; COMPUTE_PGM_RSRC2:SCRATCH_EN: 0
; COMPUTE_PGM_RSRC2:USER_SGPR: 6
; COMPUTE_PGM_RSRC2:TRAP_HANDLER: 0
; COMPUTE_PGM_RSRC2:TGID_X_EN: 1
; COMPUTE_PGM_RSRC2:TGID_Y_EN: 1
; COMPUTE_PGM_RSRC2:TGID_Z_EN: 1
; COMPUTE_PGM_RSRC2:TIDIG_COMP_CNT: 0
	.section	.text._ZL26flash_attn_combine_resultsILi256EEvPKfPK15HIP_vector_typeIfLj2EEPfi,"axG",@progbits,_ZL26flash_attn_combine_resultsILi256EEvPKfPK15HIP_vector_typeIfLj2EEPfi,comdat
	.globl	_ZL26flash_attn_combine_resultsILi256EEvPKfPK15HIP_vector_typeIfLj2EEPfi ; -- Begin function _ZL26flash_attn_combine_resultsILi256EEvPKfPK15HIP_vector_typeIfLj2EEPfi
	.p2align	8
	.type	_ZL26flash_attn_combine_resultsILi256EEvPKfPK15HIP_vector_typeIfLj2EEPfi,@function
_ZL26flash_attn_combine_resultsILi256EEvPKfPK15HIP_vector_typeIfLj2EEPfi: ; @_ZL26flash_attn_combine_resultsILi256EEvPKfPK15HIP_vector_typeIfLj2EEPfi
; %bb.0:
	s_clause 0x3
	s_load_dwordx2 s[2:3], s[4:5], 0x20
	s_load_dword s9, s[4:5], 0x18
	s_load_dwordx4 s[12:15], s[4:5], 0x0
	s_load_dwordx2 s[10:11], s[4:5], 0x10
	v_lshlrev_b32_e32 v5, 2, v0
	s_mov_b32 s4, exec_lo
	s_waitcnt lgkmcnt(0)
	s_mul_i32 s0, s2, s8
	s_lshl_b32 s1, s9, 1
	s_add_i32 s0, s0, s6
	s_mul_i32 s6, s0, s3
	s_add_i32 s6, s6, s7
	s_mul_i32 s2, s6, s9
	v_cmpx_gt_i32_e64 s1, v0
	s_cbranch_execz .LBB33_3
; %bb.1:
	s_ashr_i32 s3, s2, 31
	v_add_nc_u32_e32 v3, 0, v5
	s_lshl_b64 s[16:17], s[2:3], 3
	v_mov_b32_e32 v4, v0
	s_add_u32 s0, s14, s16
	s_addc_u32 s3, s15, s17
	v_add_co_u32 v1, s0, s0, v5
	v_add_co_ci_u32_e64 v2, null, s3, 0, s0
	s_mov_b32 s3, 0
	.p2align	6
.LBB33_2:                               ; =>This Inner Loop Header: Depth=1
	global_load_dword v6, v[1:2], off
	v_add_nc_u32_e32 v4, 0x100, v4
	v_add_co_u32 v1, vcc_lo, 0x400, v1
	v_add_co_ci_u32_e64 v2, null, 0, v2, vcc_lo
	v_cmp_le_i32_e64 s0, s1, v4
	s_or_b32 s3, s0, s3
	s_waitcnt vmcnt(0)
	ds_write_b32 v3, v6
	v_add_nc_u32_e32 v3, 0x400, v3
	s_andn2_b32 exec_lo, exec_lo, s3
	s_cbranch_execnz .LBB33_2
.LBB33_3:
	s_or_b32 exec_lo, exec_lo, s4
	v_mov_b32_e32 v1, 0
	s_waitcnt lgkmcnt(0)
	s_barrier
	buffer_gl0_inv
	s_cmp_lt_i32 s9, 2
	ds_read_b32 v6, v1
	s_cbranch_scc1 .LBB33_11
; %bb.4:
	s_add_i32 s1, s9, -2
	s_add_i32 s0, s9, -1
	s_cmp_lt_u32 s1, 7
	s_cbranch_scc1 .LBB33_8
; %bb.5:
	s_mov_b32 s3, 0
	s_add_i32 s1, 0, 8
	s_and_b32 s4, s0, -8
	.p2align	6
.LBB33_6:                               ; =>This Inner Loop Header: Depth=1
	v_mov_b32_e32 v9, s1
	s_mov_b32 s5, s3
	s_add_i32 s3, s3, 8
	s_add_i32 s1, s1, 64
	s_cmp_eq_u32 s4, s3
	ds_read2_b32 v[1:2], v9 offset1:2
	ds_read2_b32 v[3:4], v9 offset0:4 offset1:6
	ds_read2_b32 v[7:8], v9 offset0:8 offset1:10
	;; [unrolled: 1-line block ×3, first 2 shown]
	s_waitcnt lgkmcnt(3)
	v_max3_f32 v1, v6, v1, v2
	s_waitcnt lgkmcnt(2)
	v_max3_f32 v1, v1, v3, v4
	;; [unrolled: 2-line block ×4, first 2 shown]
	s_cbranch_scc0 .LBB33_6
; %bb.7:
	s_add_i32 s1, s5, 9
	s_and_b32 s0, s0, 7
	s_cmp_eq_u32 s0, 0
	s_cbranch_scc0 .LBB33_9
	s_branch .LBB33_11
.LBB33_8:
	s_mov_b32 s1, 1
	s_and_b32 s0, s0, 7
	s_cmp_eq_u32 s0, 0
	s_cbranch_scc1 .LBB33_11
.LBB33_9:
	s_lshl_b32 s1, s1, 3
	s_add_i32 s1, s1, 0
.LBB33_10:                              ; =>This Inner Loop Header: Depth=1
	v_mov_b32_e32 v1, s1
	s_waitcnt lgkmcnt(0)
	v_max_f32_e32 v2, v6, v6
	s_add_i32 s0, s0, -1
	s_add_i32 s1, s1, 8
	s_cmp_lg_u32 s0, 0
	ds_read_b32 v1, v1
	s_waitcnt lgkmcnt(0)
	v_max_f32_e32 v1, v1, v1
	v_max_f32_e32 v6, v2, v1
	s_cbranch_scc1 .LBB33_10
.LBB33_11:
	s_cmp_lt_i32 s9, 1
	s_cbranch_scc1 .LBB33_16
; %bb.12:
	s_lshl_b32 s0, s2, 8
	s_ashr_i32 s1, s0, 31
	s_lshl_b64 s[0:1], s[0:1], 2
	s_add_u32 s7, s12, s0
	s_addc_u32 s8, s13, s1
	s_cmp_lt_u32 s9, 8
	s_cbranch_scc1 .LBB33_17
; %bb.13:
	v_or_b32_e32 v1, 0x700, v0
	v_mov_b32_e32 v4, 0
	v_mov_b32_e32 v7, 0
	v_mov_b32_e32 v8, 0
	s_and_b32 s12, s9, 0x7ffffff8
	s_mov_b32 s13, 0
	s_mov_b32 s14, 0
.LBB33_14:                              ; =>This Inner Loop Header: Depth=1
	v_add_nc_u32_e32 v3, 0xfffff900, v1
	v_mov_b32_e32 v2, v4
	v_mov_b32_e32 v21, s14
	s_add_i32 s13, s13, 8
	s_add_i32 s14, s14, 64
	v_lshlrev_b64 v[9:10], 2, v[3:4]
	v_add_nc_u32_e32 v3, 0xfffffa00, v1
	v_lshlrev_b64 v[11:12], 2, v[1:2]
	s_cmp_eq_u32 s12, s13
	v_lshlrev_b64 v[13:14], 2, v[3:4]
	v_add_nc_u32_e32 v3, 0xfffffb00, v1
	v_add_co_u32 v9, vcc_lo, s7, v9
	v_add_co_ci_u32_e64 v10, null, s8, v10, vcc_lo
	v_add_co_u32 v13, vcc_lo, s7, v13
	v_lshlrev_b64 v[15:16], 2, v[3:4]
	v_add_nc_u32_e32 v3, 0xfffffc00, v1
	v_add_co_ci_u32_e64 v14, null, s8, v14, vcc_lo
	s_clause 0x1
	global_load_dword v25, v[9:10], off
	global_load_dword v26, v[13:14], off
	v_lshlrev_b64 v[9:10], 2, v[3:4]
	v_add_nc_u32_e32 v3, 0xfffffd00, v1
	v_add_co_u32 v13, vcc_lo, s7, v15
	v_add_co_ci_u32_e64 v14, null, s8, v16, vcc_lo
	v_add_co_u32 v9, vcc_lo, s7, v9
	v_lshlrev_b64 v[15:16], 2, v[3:4]
	v_add_nc_u32_e32 v3, 0xfffffe00, v1
	v_add_co_ci_u32_e64 v10, null, s8, v10, vcc_lo
	s_clause 0x1
	global_load_dword v27, v[13:14], off
	global_load_dword v28, v[9:10], off
	v_lshlrev_b64 v[13:14], 2, v[3:4]
	v_add_nc_u32_e32 v3, 0xffffff00, v1
	v_add_co_u32 v9, vcc_lo, s7, v15
	v_add_co_ci_u32_e64 v10, null, s8, v16, vcc_lo
	v_add_co_u32 v13, vcc_lo, s7, v13
	v_lshlrev_b64 v[2:3], 2, v[3:4]
	v_add_co_ci_u32_e64 v14, null, s8, v14, vcc_lo
	s_clause 0x1
	global_load_dword v29, v[9:10], off
	global_load_dword v30, v[13:14], off
	v_add_co_u32 v2, vcc_lo, s7, v2
	v_add_co_ci_u32_e64 v3, null, s8, v3, vcc_lo
	v_add_co_u32 v9, vcc_lo, s7, v11
	v_add_co_ci_u32_e64 v10, null, s8, v12, vcc_lo
	s_clause 0x1
	global_load_dword v2, v[2:3], off
	global_load_dword v3, v[9:10], off
	ds_read2_b64 v[9:12], v21 offset1:1
	ds_read2_b64 v[13:16], v21 offset0:2 offset1:3
	ds_read2_b64 v[17:20], v21 offset0:4 offset1:5
	;; [unrolled: 1-line block ×3, first 2 shown]
	v_add_nc_u32_e32 v1, 0x800, v1
	s_waitcnt lgkmcnt(3)
	v_sub_f32_e32 v9, v9, v6
	v_sub_f32_e32 v11, v11, v6
	s_waitcnt lgkmcnt(2)
	v_sub_f32_e32 v13, v13, v6
	v_sub_f32_e32 v15, v15, v6
	s_waitcnt lgkmcnt(1)
	v_sub_f32_e32 v17, v17, v6
	v_mul_f32_e32 v31, 0x3fb8aa3b, v9
	v_mul_f32_e32 v32, 0x3fb8aa3b, v11
	;; [unrolled: 1-line block ×4, first 2 shown]
	v_sub_f32_e32 v19, v19, v6
	v_fma_f32 v39, 0x3fb8aa3b, v9, -v31
	v_rndne_f32_e32 v40, v31
	v_fma_f32 v41, 0x3fb8aa3b, v11, -v32
	v_rndne_f32_e32 v42, v32
	v_fma_f32 v43, 0x3fb8aa3b, v13, -v33
	v_fmac_f32_e32 v39, 0x32a5705f, v9
	v_sub_f32_e32 v31, v31, v40
	v_rndne_f32_e32 v44, v33
	v_fmac_f32_e32 v41, 0x32a5705f, v11
	v_sub_f32_e32 v32, v32, v42
	v_fmac_f32_e32 v43, 0x32a5705f, v13
	v_add_f32_e32 v31, v31, v39
	v_sub_f32_e32 v33, v33, v44
	v_mul_f32_e32 v35, 0x3fb8aa3b, v17
	v_add_f32_e32 v32, v32, v41
	v_fma_f32 v45, 0x3fb8aa3b, v15, -v34
	v_exp_f32_e32 v31, v31
	v_rndne_f32_e32 v46, v34
	v_add_f32_e32 v33, v33, v43
	v_cvt_i32_f32_e32 v40, v40
	v_exp_f32_e32 v32, v32
	s_waitcnt lgkmcnt(0)
	v_sub_f32_e32 v21, v21, v6
	v_mul_f32_e32 v36, 0x3fb8aa3b, v19
	v_fma_f32 v47, 0x3fb8aa3b, v17, -v35
	v_rndne_f32_e32 v48, v35
	v_cvt_i32_f32_e32 v42, v42
	v_fmac_f32_e32 v45, 0x32a5705f, v15
	v_sub_f32_e32 v34, v34, v46
	v_exp_f32_e32 v33, v33
	v_ldexp_f32 v31, v31, v40
	v_cmp_ngt_f32_e64 s5, 0xc2ce8ed0, v9
	v_sub_f32_e32 v23, v23, v6
	v_mul_f32_e32 v37, 0x3fb8aa3b, v21
	v_fma_f32 v49, 0x3fb8aa3b, v19, -v36
	v_rndne_f32_e32 v50, v36
	v_cvt_i32_f32_e32 v44, v44
	v_fmac_f32_e32 v47, 0x32a5705f, v17
	v_sub_f32_e32 v35, v35, v48
	v_add_f32_e32 v34, v34, v45
	v_ldexp_f32 v32, v32, v42
	v_cndmask_b32_e64 v31, 0, v31, s5
	v_cmp_ngt_f32_e64 s5, 0xc2ce8ed0, v11
	v_mul_f32_e32 v38, 0x3fb8aa3b, v23
	v_fma_f32 v51, 0x3fb8aa3b, v21, -v37
	v_rndne_f32_e32 v39, v37
	v_fmac_f32_e32 v49, 0x32a5705f, v19
	v_sub_f32_e32 v36, v36, v50
	v_add_f32_e32 v35, v35, v47
	v_exp_f32_e32 v34, v34
	v_ldexp_f32 v33, v33, v44
	v_cmp_ngt_f32_e32 vcc_lo, 0xc2ce8ed0, v13
	v_cndmask_b32_e64 v32, 0, v32, s5
	v_cmp_nlt_f32_e64 s5, 0x42b17218, v9
	v_fma_f32 v41, 0x3fb8aa3b, v23, -v38
	v_rndne_f32_e32 v43, v38
	v_cvt_i32_f32_e32 v46, v46
	v_fmac_f32_e32 v51, 0x32a5705f, v21
	v_sub_f32_e32 v37, v37, v39
	v_add_f32_e32 v36, v36, v49
	v_exp_f32_e32 v35, v35
	v_cndmask_b32_e64 v9, 0x7f800000, v31, s5
	v_cndmask_b32_e32 v31, 0, v33, vcc_lo
	v_cmp_nlt_f32_e32 vcc_lo, 0x42b17218, v11
	v_cvt_i32_f32_e32 v48, v48
	v_fmac_f32_e32 v41, 0x32a5705f, v23
	v_sub_f32_e32 v38, v38, v43
	v_add_f32_e32 v37, v37, v51
	v_exp_f32_e32 v36, v36
	v_ldexp_f32 v34, v34, v46
	v_cmp_ngt_f32_e64 s0, 0xc2ce8ed0, v15
	v_cndmask_b32_e32 v11, 0x7f800000, v32, vcc_lo
	v_fmac_f32_e32 v8, v9, v10
	v_cmp_nlt_f32_e32 vcc_lo, 0x42b17218, v13
	v_cvt_i32_f32_e32 v50, v50
	v_add_f32_e32 v38, v38, v41
	v_exp_f32_e32 v37, v37
	v_ldexp_f32 v35, v35, v48
	v_cmp_ngt_f32_e64 s1, 0xc2ce8ed0, v17
	v_cndmask_b32_e32 v10, 0x7f800000, v31, vcc_lo
	v_fmac_f32_e32 v8, v11, v12
	v_cmp_nlt_f32_e32 vcc_lo, 0x42b17218, v15
	v_cvt_i32_f32_e32 v39, v39
	v_exp_f32_e32 v38, v38
	v_ldexp_f32 v36, v36, v50
	v_cmp_ngt_f32_e64 s2, 0xc2ce8ed0, v19
	v_fmac_f32_e32 v8, v10, v14
	v_cvt_i32_f32_e32 v43, v43
	v_ldexp_f32 v37, v37, v39
	v_cmp_ngt_f32_e64 s3, 0xc2ce8ed0, v21
	v_cmp_ngt_f32_e64 s4, 0xc2ce8ed0, v23
	v_ldexp_f32 v38, v38, v43
	s_waitcnt vmcnt(7)
	v_fmac_f32_e32 v7, v25, v9
	v_cndmask_b32_e64 v9, 0, v34, s0
	s_waitcnt vmcnt(6)
	v_fmac_f32_e32 v7, v26, v11
	v_cndmask_b32_e64 v11, 0, v35, s1
	v_cndmask_b32_e32 v9, 0x7f800000, v9, vcc_lo
	v_cmp_nlt_f32_e32 vcc_lo, 0x42b17218, v17
	v_fmac_f32_e32 v8, v9, v16
	v_cndmask_b32_e32 v11, 0x7f800000, v11, vcc_lo
	v_cmp_nlt_f32_e32 vcc_lo, 0x42b17218, v19
	s_waitcnt vmcnt(5)
	v_fmac_f32_e32 v7, v27, v10
	v_cndmask_b32_e64 v10, 0, v36, s2
	v_fmac_f32_e32 v8, v11, v18
	s_waitcnt vmcnt(4)
	v_fmac_f32_e32 v7, v28, v9
	v_cndmask_b32_e64 v9, 0, v37, s3
	v_cndmask_b32_e32 v10, 0x7f800000, v10, vcc_lo
	v_cmp_nlt_f32_e32 vcc_lo, 0x42b17218, v21
	v_fmac_f32_e32 v8, v10, v20
	v_cndmask_b32_e32 v9, 0x7f800000, v9, vcc_lo
	v_cmp_nlt_f32_e32 vcc_lo, 0x42b17218, v23
	s_waitcnt vmcnt(3)
	v_fmac_f32_e32 v7, v29, v11
	v_cndmask_b32_e64 v11, 0, v38, s4
	v_fmac_f32_e32 v8, v9, v22
	s_waitcnt vmcnt(2)
	v_fmac_f32_e32 v7, v30, v10
	v_cndmask_b32_e32 v10, 0x7f800000, v11, vcc_lo
	s_waitcnt vmcnt(1)
	v_fmac_f32_e32 v7, v2, v9
	v_fmac_f32_e32 v8, v10, v24
	s_waitcnt vmcnt(0)
	v_fmac_f32_e32 v7, v3, v10
	s_cbranch_scc0 .LBB33_14
; %bb.15:
	s_and_b32 s0, s9, 7
	s_cmp_eq_u32 s0, 0
	s_cbranch_scc0 .LBB33_18
	s_branch .LBB33_20
.LBB33_16:
	v_mov_b32_e32 v0, 0x7fc00000
	s_branch .LBB33_21
.LBB33_17:
	v_mov_b32_e32 v7, 0
	v_mov_b32_e32 v8, 0
	s_mov_b32 s12, 0
	s_and_b32 s0, s9, 7
	s_cmp_eq_u32 s0, 0
	s_cbranch_scc1 .LBB33_20
.LBB33_18:
	v_lshl_or_b32 v0, s12, 8, v0
	v_mov_b32_e32 v1, 0
	s_lshl_b32 s1, s12, 3
	s_add_i32 s1, s1, 0
	s_inst_prefetch 0x1
	.p2align	6
.LBB33_19:                              ; =>This Inner Loop Header: Depth=1
	v_lshlrev_b64 v[2:3], 2, v[0:1]
	v_add_nc_u32_e32 v0, 0x100, v0
	s_add_i32 s0, s0, -1
	v_add_co_u32 v2, vcc_lo, s7, v2
	v_add_co_ci_u32_e64 v3, null, s8, v3, vcc_lo
	global_load_dword v4, v[2:3], off
	v_mov_b32_e32 v2, s1
	s_add_i32 s1, s1, 8
	s_cmp_lg_u32 s0, 0
	ds_read_b64 v[2:3], v2
	s_waitcnt lgkmcnt(0)
	v_sub_f32_e32 v2, v2, v6
	v_mul_f32_e32 v9, 0x3fb8aa3b, v2
	v_cmp_ngt_f32_e32 vcc_lo, 0xc2ce8ed0, v2
	v_fma_f32 v10, 0x3fb8aa3b, v2, -v9
	v_rndne_f32_e32 v11, v9
	v_fmac_f32_e32 v10, 0x32a5705f, v2
	v_sub_f32_e32 v9, v9, v11
	v_add_f32_e32 v9, v9, v10
	v_cvt_i32_f32_e32 v10, v11
	v_exp_f32_e32 v9, v9
	v_ldexp_f32 v9, v9, v10
	v_cndmask_b32_e32 v9, 0, v9, vcc_lo
	v_cmp_nlt_f32_e32 vcc_lo, 0x42b17218, v2
	v_cndmask_b32_e32 v2, 0x7f800000, v9, vcc_lo
	v_fmac_f32_e32 v8, v2, v3
	s_waitcnt vmcnt(0)
	v_fmac_f32_e32 v7, v4, v2
	s_cbranch_scc1 .LBB33_19
.LBB33_20:
	s_inst_prefetch 0x2
	v_div_scale_f32 v0, null, v8, v8, v7
	v_rcp_f32_e32 v1, v0
	v_fma_f32 v2, -v0, v1, 1.0
	v_fmac_f32_e32 v1, v2, v1
	v_div_scale_f32 v2, vcc_lo, v7, v8, v7
	v_mul_f32_e32 v3, v2, v1
	v_fma_f32 v4, -v0, v3, v2
	v_fmac_f32_e32 v3, v4, v1
	v_fma_f32 v0, -v0, v3, v2
	v_div_fmas_f32 v0, v0, v1, v3
	v_div_fixup_f32 v0, v0, v8, v7
.LBB33_21:
	s_lshl_b32 s0, s6, 8
	s_ashr_i32 s1, s0, 31
	s_lshl_b64 s[0:1], s[0:1], 2
	s_add_u32 s0, s10, s0
	s_addc_u32 s1, s11, s1
	global_store_dword v5, v0, s[0:1]
	s_endpgm
	.section	.rodata,"a",@progbits
	.p2align	6, 0x0
	.amdhsa_kernel _ZL26flash_attn_combine_resultsILi256EEvPKfPK15HIP_vector_typeIfLj2EEPfi
		.amdhsa_group_segment_fixed_size 0
		.amdhsa_private_segment_fixed_size 0
		.amdhsa_kernarg_size 288
		.amdhsa_user_sgpr_count 6
		.amdhsa_user_sgpr_private_segment_buffer 1
		.amdhsa_user_sgpr_dispatch_ptr 0
		.amdhsa_user_sgpr_queue_ptr 0
		.amdhsa_user_sgpr_kernarg_segment_ptr 1
		.amdhsa_user_sgpr_dispatch_id 0
		.amdhsa_user_sgpr_flat_scratch_init 0
		.amdhsa_user_sgpr_private_segment_size 0
		.amdhsa_wavefront_size32 1
		.amdhsa_uses_dynamic_stack 0
		.amdhsa_system_sgpr_private_segment_wavefront_offset 0
		.amdhsa_system_sgpr_workgroup_id_x 1
		.amdhsa_system_sgpr_workgroup_id_y 1
		.amdhsa_system_sgpr_workgroup_id_z 1
		.amdhsa_system_sgpr_workgroup_info 0
		.amdhsa_system_vgpr_workitem_id 0
		.amdhsa_next_free_vgpr 52
		.amdhsa_next_free_sgpr 18
		.amdhsa_reserve_vcc 1
		.amdhsa_reserve_flat_scratch 0
		.amdhsa_float_round_mode_32 0
		.amdhsa_float_round_mode_16_64 0
		.amdhsa_float_denorm_mode_32 3
		.amdhsa_float_denorm_mode_16_64 3
		.amdhsa_dx10_clamp 1
		.amdhsa_ieee_mode 1
		.amdhsa_fp16_overflow 0
		.amdhsa_workgroup_processor_mode 1
		.amdhsa_memory_ordered 1
		.amdhsa_forward_progress 1
		.amdhsa_shared_vgpr_count 0
		.amdhsa_exception_fp_ieee_invalid_op 0
		.amdhsa_exception_fp_denorm_src 0
		.amdhsa_exception_fp_ieee_div_zero 0
		.amdhsa_exception_fp_ieee_overflow 0
		.amdhsa_exception_fp_ieee_underflow 0
		.amdhsa_exception_fp_ieee_inexact 0
		.amdhsa_exception_int_div_zero 0
	.end_amdhsa_kernel
	.section	.text._ZL26flash_attn_combine_resultsILi256EEvPKfPK15HIP_vector_typeIfLj2EEPfi,"axG",@progbits,_ZL26flash_attn_combine_resultsILi256EEvPKfPK15HIP_vector_typeIfLj2EEPfi,comdat
.Lfunc_end33:
	.size	_ZL26flash_attn_combine_resultsILi256EEvPKfPK15HIP_vector_typeIfLj2EEPfi, .Lfunc_end33-_ZL26flash_attn_combine_resultsILi256EEvPKfPK15HIP_vector_typeIfLj2EEPfi
                                        ; -- End function
	.set _ZL26flash_attn_combine_resultsILi256EEvPKfPK15HIP_vector_typeIfLj2EEPfi.num_vgpr, 52
	.set _ZL26flash_attn_combine_resultsILi256EEvPKfPK15HIP_vector_typeIfLj2EEPfi.num_agpr, 0
	.set _ZL26flash_attn_combine_resultsILi256EEvPKfPK15HIP_vector_typeIfLj2EEPfi.numbered_sgpr, 18
	.set _ZL26flash_attn_combine_resultsILi256EEvPKfPK15HIP_vector_typeIfLj2EEPfi.num_named_barrier, 0
	.set _ZL26flash_attn_combine_resultsILi256EEvPKfPK15HIP_vector_typeIfLj2EEPfi.private_seg_size, 0
	.set _ZL26flash_attn_combine_resultsILi256EEvPKfPK15HIP_vector_typeIfLj2EEPfi.uses_vcc, 1
	.set _ZL26flash_attn_combine_resultsILi256EEvPKfPK15HIP_vector_typeIfLj2EEPfi.uses_flat_scratch, 0
	.set _ZL26flash_attn_combine_resultsILi256EEvPKfPK15HIP_vector_typeIfLj2EEPfi.has_dyn_sized_stack, 0
	.set _ZL26flash_attn_combine_resultsILi256EEvPKfPK15HIP_vector_typeIfLj2EEPfi.has_recursion, 0
	.set _ZL26flash_attn_combine_resultsILi256EEvPKfPK15HIP_vector_typeIfLj2EEPfi.has_indirect_call, 0
	.section	.AMDGPU.csdata,"",@progbits
; Kernel info:
; codeLenInByte = 2264
; TotalNumSgprs: 20
; NumVgprs: 52
; ScratchSize: 0
; MemoryBound: 0
; FloatMode: 240
; IeeeMode: 1
; LDSByteSize: 0 bytes/workgroup (compile time only)
; SGPRBlocks: 0
; VGPRBlocks: 6
; NumSGPRsForWavesPerEU: 20
; NumVGPRsForWavesPerEU: 52
; Occupancy: 16
; WaveLimiterHint : 0
; COMPUTE_PGM_RSRC2:SCRATCH_EN: 0
; COMPUTE_PGM_RSRC2:USER_SGPR: 6
; COMPUTE_PGM_RSRC2:TRAP_HANDLER: 0
; COMPUTE_PGM_RSRC2:TGID_X_EN: 1
; COMPUTE_PGM_RSRC2:TGID_Y_EN: 1
; COMPUTE_PGM_RSRC2:TGID_Z_EN: 1
; COMPUTE_PGM_RSRC2:TIDIG_COMP_CNT: 0
	.text
	.p2alignl 6, 3214868480
	.fill 48, 4, 3214868480
	.section	.AMDGPU.gpr_maximums,"",@progbits
	.set amdgpu.max_num_vgpr, 40
	.set amdgpu.max_num_agpr, 0
	.set amdgpu.max_num_sgpr, 34
	.text
	.type	.str,@object                    ; @.str
	.section	.rodata.str1.1,"aMS",@progbits,1
.str:
	.asciz	"/root/src/amdgpu-assembly/repos/ggml-org__llama.cpp/ggml/src/ggml-cuda/template-instances/../fattn-mma-f16.cuh"
	.size	.str, 111

	.type	__FUNCTION__._ZL18flash_attn_ext_f16ILi64ELi64ELi8ELi1ELb0ELb0EEvPKcS1_S1_S1_S1_PKiPfP15HIP_vector_typeIfLj2EEffffjfiS5_IjLj3EEiiiiiiiiiiiliiliiiiil,@object ; @__FUNCTION__._ZL18flash_attn_ext_f16ILi64ELi64ELi8ELi1ELb0ELb0EEvPKcS1_S1_S1_S1_PKiPfP15HIP_vector_typeIfLj2EEffffjfiS5_IjLj3EEiiiiiiiiiiiliiliiiiil
__FUNCTION__._ZL18flash_attn_ext_f16ILi64ELi64ELi8ELi1ELb0ELb0EEvPKcS1_S1_S1_S1_PKiPfP15HIP_vector_typeIfLj2EEffffjfiS5_IjLj3EEiiiiiiiiiiiliiliiiiil:
	.asciz	"flash_attn_ext_f16"
	.size	__FUNCTION__._ZL18flash_attn_ext_f16ILi64ELi64ELi8ELi1ELb0ELb0EEvPKcS1_S1_S1_S1_PKiPfP15HIP_vector_typeIfLj2EEffffjfiS5_IjLj3EEiiiiiiiiiiiliiliiiiil, 19

	.type	.str.2,@object                  ; @.str.2
.str.2:
	.asciz	"%s:%d: ERROR: HIP kernel %s has no device code compatible with HIP arch %d.\n"
	.size	.str.2, 77

	.type	__hip_cuid_168e125857ba1c9e,@object ; @__hip_cuid_168e125857ba1c9e
	.section	.bss,"aw",@nobits
	.globl	__hip_cuid_168e125857ba1c9e
__hip_cuid_168e125857ba1c9e:
	.byte	0                               ; 0x0
	.size	__hip_cuid_168e125857ba1c9e, 1

	.ident	"AMD clang version 22.0.0git (https://github.com/RadeonOpenCompute/llvm-project roc-7.2.4 26084 f58b06dce1f9c15707c5f808fd002e18c2accf7e)"
	.section	".note.GNU-stack","",@progbits
	.addrsig
	.addrsig_sym __hip_cuid_168e125857ba1c9e
	.amdgpu_metadata
---
amdhsa.kernels:
  - .args:
      - .address_space:  global
        .offset:         0
        .size:           8
        .value_kind:     global_buffer
      - .address_space:  global
        .offset:         8
        .size:           8
        .value_kind:     global_buffer
      - .address_space:  global
        .offset:         16
        .size:           8
        .value_kind:     global_buffer
      - .address_space:  global
        .offset:         24
        .size:           8
        .value_kind:     global_buffer
      - .address_space:  global
        .offset:         32
        .size:           8
        .value_kind:     global_buffer
      - .address_space:  global
        .offset:         40
        .size:           8
        .value_kind:     global_buffer
      - .address_space:  global
        .offset:         48
        .size:           8
        .value_kind:     global_buffer
      - .address_space:  global
        .offset:         56
        .size:           8
        .value_kind:     global_buffer
      - .offset:         64
        .size:           4
        .value_kind:     by_value
      - .offset:         68
        .size:           4
        .value_kind:     by_value
      - .offset:         72
        .size:           4
        .value_kind:     by_value
      - .offset:         76
        .size:           4
        .value_kind:     by_value
      - .offset:         80
        .size:           4
        .value_kind:     by_value
      - .offset:         84
        .size:           4
        .value_kind:     by_value
      - .offset:         88
        .size:           4
        .value_kind:     by_value
      - .offset:         92
        .size:           12
        .value_kind:     by_value
      - .offset:         104
        .size:           4
        .value_kind:     by_value
      - .offset:         108
        .size:           4
        .value_kind:     by_value
      - .offset:         112
        .size:           4
        .value_kind:     by_value
      - .offset:         116
        .size:           4
        .value_kind:     by_value
      - .offset:         120
        .size:           4
        .value_kind:     by_value
      - .offset:         124
        .size:           4
        .value_kind:     by_value
      - .offset:         128
        .size:           4
        .value_kind:     by_value
      - .offset:         132
        .size:           4
        .value_kind:     by_value
      - .offset:         136
        .size:           4
        .value_kind:     by_value
      - .offset:         140
        .size:           4
        .value_kind:     by_value
      - .offset:         144
        .size:           4
        .value_kind:     by_value
      - .offset:         152
        .size:           8
        .value_kind:     by_value
      - .offset:         160
        .size:           4
        .value_kind:     by_value
      - .offset:         164
        .size:           4
        .value_kind:     by_value
      - .offset:         168
        .size:           8
        .value_kind:     by_value
      - .offset:         176
        .size:           4
        .value_kind:     by_value
      - .offset:         180
        .size:           4
        .value_kind:     by_value
      - .offset:         184
        .size:           4
        .value_kind:     by_value
      - .offset:         188
        .size:           4
        .value_kind:     by_value
      - .offset:         192
        .size:           4
        .value_kind:     by_value
      - .offset:         200
        .size:           8
        .value_kind:     by_value
      - .offset:         208
        .size:           4
        .value_kind:     hidden_block_count_x
      - .offset:         212
        .size:           4
        .value_kind:     hidden_block_count_y
      - .offset:         216
        .size:           4
        .value_kind:     hidden_block_count_z
      - .offset:         220
        .size:           2
        .value_kind:     hidden_group_size_x
      - .offset:         222
        .size:           2
        .value_kind:     hidden_group_size_y
      - .offset:         224
        .size:           2
        .value_kind:     hidden_group_size_z
      - .offset:         226
        .size:           2
        .value_kind:     hidden_remainder_x
      - .offset:         228
        .size:           2
        .value_kind:     hidden_remainder_y
      - .offset:         230
        .size:           2
        .value_kind:     hidden_remainder_z
      - .offset:         248
        .size:           8
        .value_kind:     hidden_global_offset_x
      - .offset:         256
        .size:           8
        .value_kind:     hidden_global_offset_y
      - .offset:         264
        .size:           8
        .value_kind:     hidden_global_offset_z
      - .offset:         272
        .size:           2
        .value_kind:     hidden_grid_dims
      - .offset:         288
        .size:           8
        .value_kind:     hidden_hostcall_buffer
    .group_segment_fixed_size: 0
    .kernarg_segment_align: 8
    .kernarg_segment_size: 464
    .language:       OpenCL C
    .language_version:
      - 2
      - 0
    .max_flat_workgroup_size: 32
    .name:           _ZL18flash_attn_ext_f16ILi64ELi64ELi8ELi1ELb0ELb0EEvPKcS1_S1_S1_S1_PKiPfP15HIP_vector_typeIfLj2EEffffjfiS5_IjLj3EEiiiiiiiiiiiliiliiiiil
    .private_segment_fixed_size: 16
    .sgpr_count:     36
    .sgpr_spill_count: 0
    .symbol:         _ZL18flash_attn_ext_f16ILi64ELi64ELi8ELi1ELb0ELb0EEvPKcS1_S1_S1_S1_PKiPfP15HIP_vector_typeIfLj2EEffffjfiS5_IjLj3EEiiiiiiiiiiiliiliiiiil.kd
    .uniform_work_group_size: 1
    .uses_dynamic_stack: false
    .vgpr_count:     40
    .vgpr_spill_count: 0
    .wavefront_size: 32
    .workgroup_processor_mode: 1
  - .args:
      - .address_space:  global
        .offset:         0
        .size:           8
        .value_kind:     global_buffer
      - .address_space:  global
        .offset:         8
        .size:           8
        .value_kind:     global_buffer
      - .address_space:  global
        .offset:         16
        .size:           8
        .value_kind:     global_buffer
      - .address_space:  global
        .offset:         24
        .size:           8
        .value_kind:     global_buffer
      - .address_space:  global
        .offset:         32
        .size:           8
        .value_kind:     global_buffer
      - .address_space:  global
        .offset:         40
        .size:           8
        .value_kind:     global_buffer
      - .address_space:  global
        .offset:         48
        .size:           8
        .value_kind:     global_buffer
      - .address_space:  global
        .offset:         56
        .size:           8
        .value_kind:     global_buffer
      - .offset:         64
        .size:           4
        .value_kind:     by_value
      - .offset:         68
        .size:           4
        .value_kind:     by_value
      - .offset:         72
        .size:           4
        .value_kind:     by_value
      - .offset:         76
        .size:           4
        .value_kind:     by_value
      - .offset:         80
        .size:           4
        .value_kind:     by_value
      - .offset:         84
        .size:           4
        .value_kind:     by_value
      - .offset:         88
        .size:           4
        .value_kind:     by_value
      - .offset:         92
        .size:           12
        .value_kind:     by_value
      - .offset:         104
        .size:           4
        .value_kind:     by_value
      - .offset:         108
        .size:           4
        .value_kind:     by_value
      - .offset:         112
        .size:           4
        .value_kind:     by_value
      - .offset:         116
        .size:           4
        .value_kind:     by_value
      - .offset:         120
        .size:           4
        .value_kind:     by_value
      - .offset:         124
        .size:           4
        .value_kind:     by_value
      - .offset:         128
        .size:           4
        .value_kind:     by_value
      - .offset:         132
        .size:           4
        .value_kind:     by_value
      - .offset:         136
        .size:           4
        .value_kind:     by_value
      - .offset:         140
        .size:           4
        .value_kind:     by_value
      - .offset:         144
        .size:           4
        .value_kind:     by_value
      - .offset:         152
        .size:           8
        .value_kind:     by_value
      - .offset:         160
        .size:           4
        .value_kind:     by_value
      - .offset:         164
        .size:           4
        .value_kind:     by_value
      - .offset:         168
        .size:           8
        .value_kind:     by_value
      - .offset:         176
        .size:           4
        .value_kind:     by_value
      - .offset:         180
        .size:           4
        .value_kind:     by_value
      - .offset:         184
        .size:           4
        .value_kind:     by_value
      - .offset:         188
        .size:           4
        .value_kind:     by_value
      - .offset:         192
        .size:           4
        .value_kind:     by_value
      - .offset:         200
        .size:           8
        .value_kind:     by_value
      - .offset:         208
        .size:           4
        .value_kind:     hidden_block_count_x
      - .offset:         212
        .size:           4
        .value_kind:     hidden_block_count_y
      - .offset:         216
        .size:           4
        .value_kind:     hidden_block_count_z
      - .offset:         220
        .size:           2
        .value_kind:     hidden_group_size_x
      - .offset:         222
        .size:           2
        .value_kind:     hidden_group_size_y
      - .offset:         224
        .size:           2
        .value_kind:     hidden_group_size_z
      - .offset:         226
        .size:           2
        .value_kind:     hidden_remainder_x
      - .offset:         228
        .size:           2
        .value_kind:     hidden_remainder_y
      - .offset:         230
        .size:           2
        .value_kind:     hidden_remainder_z
      - .offset:         248
        .size:           8
        .value_kind:     hidden_global_offset_x
      - .offset:         256
        .size:           8
        .value_kind:     hidden_global_offset_y
      - .offset:         264
        .size:           8
        .value_kind:     hidden_global_offset_z
      - .offset:         272
        .size:           2
        .value_kind:     hidden_grid_dims
      - .offset:         288
        .size:           8
        .value_kind:     hidden_hostcall_buffer
    .group_segment_fixed_size: 0
    .kernarg_segment_align: 8
    .kernarg_segment_size: 464
    .language:       OpenCL C
    .language_version:
      - 2
      - 0
    .max_flat_workgroup_size: 32
    .name:           _ZL18flash_attn_ext_f16ILi64ELi64ELi8ELi1ELb1ELb0EEvPKcS1_S1_S1_S1_PKiPfP15HIP_vector_typeIfLj2EEffffjfiS5_IjLj3EEiiiiiiiiiiiliiliiiiil
    .private_segment_fixed_size: 16
    .sgpr_count:     36
    .sgpr_spill_count: 0
    .symbol:         _ZL18flash_attn_ext_f16ILi64ELi64ELi8ELi1ELb1ELb0EEvPKcS1_S1_S1_S1_PKiPfP15HIP_vector_typeIfLj2EEffffjfiS5_IjLj3EEiiiiiiiiiiiliiliiiiil.kd
    .uniform_work_group_size: 1
    .uses_dynamic_stack: false
    .vgpr_count:     40
    .vgpr_spill_count: 0
    .wavefront_size: 32
    .workgroup_processor_mode: 1
  - .args:
      - .actual_access:  read_only
        .address_space:  global
        .offset:         0
        .size:           8
        .value_kind:     global_buffer
      - .actual_access:  write_only
        .address_space:  global
        .offset:         8
        .size:           8
        .value_kind:     global_buffer
      - .offset:         16
        .size:           4
        .value_kind:     by_value
      - .offset:         20
        .size:           4
        .value_kind:     by_value
      - .offset:         24
        .size:           4
        .value_kind:     by_value
      - .offset:         32
        .size:           4
        .value_kind:     hidden_block_count_x
      - .offset:         36
        .size:           4
        .value_kind:     hidden_block_count_y
      - .offset:         40
        .size:           4
        .value_kind:     hidden_block_count_z
      - .offset:         44
        .size:           2
        .value_kind:     hidden_group_size_x
      - .offset:         46
        .size:           2
        .value_kind:     hidden_group_size_y
      - .offset:         48
        .size:           2
        .value_kind:     hidden_group_size_z
      - .offset:         50
        .size:           2
        .value_kind:     hidden_remainder_x
      - .offset:         52
        .size:           2
        .value_kind:     hidden_remainder_y
      - .offset:         54
        .size:           2
        .value_kind:     hidden_remainder_z
      - .offset:         72
        .size:           8
        .value_kind:     hidden_global_offset_x
      - .offset:         80
        .size:           8
        .value_kind:     hidden_global_offset_y
      - .offset:         88
        .size:           8
        .value_kind:     hidden_global_offset_z
      - .offset:         96
        .size:           2
        .value_kind:     hidden_grid_dims
    .group_segment_fixed_size: 128
    .kernarg_segment_align: 8
    .kernarg_segment_size: 288
    .language:       OpenCL C
    .language_version:
      - 2
      - 0
    .max_flat_workgroup_size: 128
    .name:           _ZL25flash_attn_mask_to_KV_maxILi8EEvPK7__half2Piiii
    .private_segment_fixed_size: 0
    .sgpr_count:     29
    .sgpr_spill_count: 0
    .symbol:         _ZL25flash_attn_mask_to_KV_maxILi8EEvPK7__half2Piiii.kd
    .uniform_work_group_size: 1
    .uses_dynamic_stack: false
    .vgpr_count:     10
    .vgpr_spill_count: 0
    .wavefront_size: 32
    .workgroup_processor_mode: 1
  - .args:
      - .address_space:  global
        .offset:         0
        .size:           8
        .value_kind:     global_buffer
      - .address_space:  global
        .offset:         8
        .size:           8
        .value_kind:     global_buffer
      - .offset:         16
        .size:           4
        .value_kind:     by_value
      - .offset:         20
        .size:           4
        .value_kind:     by_value
      - .offset:         24
        .size:           4
        .value_kind:     by_value
      - .offset:         28
        .size:           4
        .value_kind:     by_value
      - .offset:         32
        .size:           4
        .value_kind:     by_value
      - .offset:         36
        .size:           4
        .value_kind:     by_value
      - .offset:         40
        .size:           12
        .value_kind:     by_value
      - .offset:         52
        .size:           12
        .value_kind:     by_value
      - .offset:         64
        .size:           12
        .value_kind:     by_value
    .group_segment_fixed_size: 0
    .kernarg_segment_align: 8
    .kernarg_segment_size: 76
    .language:       OpenCL C
    .language_version:
      - 2
      - 0
    .max_flat_workgroup_size: 64
    .name:           _ZL33flash_attn_stream_k_fixup_uniformILi64ELi8ELi1EEvPfPK15HIP_vector_typeIfLj2EEiiiiiiS1_IjLj3EES5_S5_
    .private_segment_fixed_size: 0
    .sgpr_count:     26
    .sgpr_spill_count: 0
    .symbol:         _ZL33flash_attn_stream_k_fixup_uniformILi64ELi8ELi1EEvPfPK15HIP_vector_typeIfLj2EEiiiiiiS1_IjLj3EES5_S5_.kd
    .uniform_work_group_size: 1
    .uses_dynamic_stack: false
    .vgpr_count:     15
    .vgpr_spill_count: 0
    .wavefront_size: 32
    .workgroup_processor_mode: 1
  - .args:
      - .address_space:  global
        .offset:         0
        .size:           8
        .value_kind:     global_buffer
      - .address_space:  global
        .offset:         8
        .size:           8
        .value_kind:     global_buffer
      - .offset:         16
        .size:           4
        .value_kind:     by_value
      - .offset:         20
        .size:           4
        .value_kind:     by_value
      - .offset:         24
        .size:           4
        .value_kind:     by_value
      - .offset:         28
        .size:           4
        .value_kind:     by_value
      - .offset:         32
        .size:           12
        .value_kind:     by_value
      - .offset:         44
        .size:           12
        .value_kind:     by_value
      - .offset:         56
        .size:           12
        .value_kind:     by_value
      - .offset:         68
        .size:           12
        .value_kind:     by_value
      - .offset:         80
        .size:           4
        .value_kind:     hidden_block_count_x
      - .offset:         84
        .size:           4
        .value_kind:     hidden_block_count_y
      - .offset:         88
        .size:           4
        .value_kind:     hidden_block_count_z
      - .offset:         92
        .size:           2
        .value_kind:     hidden_group_size_x
      - .offset:         94
        .size:           2
        .value_kind:     hidden_group_size_y
      - .offset:         96
        .size:           2
        .value_kind:     hidden_group_size_z
      - .offset:         98
        .size:           2
        .value_kind:     hidden_remainder_x
      - .offset:         100
        .size:           2
        .value_kind:     hidden_remainder_y
      - .offset:         102
        .size:           2
        .value_kind:     hidden_remainder_z
      - .offset:         120
        .size:           8
        .value_kind:     hidden_global_offset_x
      - .offset:         128
        .size:           8
        .value_kind:     hidden_global_offset_y
      - .offset:         136
        .size:           8
        .value_kind:     hidden_global_offset_z
      - .offset:         144
        .size:           2
        .value_kind:     hidden_grid_dims
    .group_segment_fixed_size: 0
    .kernarg_segment_align: 8
    .kernarg_segment_size: 336
    .language:       OpenCL C
    .language_version:
      - 2
      - 0
    .max_flat_workgroup_size: 64
    .name:           _ZL33flash_attn_stream_k_fixup_generalILi64ELi8ELi1EEvPfPK15HIP_vector_typeIfLj2EEiiiiS1_IjLj3EES5_S5_S5_
    .private_segment_fixed_size: 0
    .sgpr_count:     33
    .sgpr_spill_count: 0
    .symbol:         _ZL33flash_attn_stream_k_fixup_generalILi64ELi8ELi1EEvPfPK15HIP_vector_typeIfLj2EEiiiiS1_IjLj3EES5_S5_S5_.kd
    .uniform_work_group_size: 1
    .uses_dynamic_stack: false
    .vgpr_count:     17
    .vgpr_spill_count: 0
    .wavefront_size: 32
    .workgroup_processor_mode: 1
  - .args:
      - .address_space:  global
        .offset:         0
        .size:           8
        .value_kind:     global_buffer
      - .address_space:  global
        .offset:         8
        .size:           8
        .value_kind:     global_buffer
      - .address_space:  global
        .offset:         16
        .size:           8
        .value_kind:     global_buffer
      - .offset:         24
        .size:           4
        .value_kind:     by_value
      - .offset:         32
        .size:           4
        .value_kind:     hidden_block_count_x
      - .offset:         36
        .size:           4
        .value_kind:     hidden_block_count_y
      - .offset:         40
        .size:           4
        .value_kind:     hidden_block_count_z
      - .offset:         44
        .size:           2
        .value_kind:     hidden_group_size_x
      - .offset:         46
        .size:           2
        .value_kind:     hidden_group_size_y
      - .offset:         48
        .size:           2
        .value_kind:     hidden_group_size_z
      - .offset:         50
        .size:           2
        .value_kind:     hidden_remainder_x
      - .offset:         52
        .size:           2
        .value_kind:     hidden_remainder_y
      - .offset:         54
        .size:           2
        .value_kind:     hidden_remainder_z
      - .offset:         72
        .size:           8
        .value_kind:     hidden_global_offset_x
      - .offset:         80
        .size:           8
        .value_kind:     hidden_global_offset_y
      - .offset:         88
        .size:           8
        .value_kind:     hidden_global_offset_z
      - .offset:         96
        .size:           2
        .value_kind:     hidden_grid_dims
      - .offset:         152
        .size:           4
        .value_kind:     hidden_dynamic_lds_size
    .group_segment_fixed_size: 0
    .kernarg_segment_align: 8
    .kernarg_segment_size: 288
    .language:       OpenCL C
    .language_version:
      - 2
      - 0
    .max_flat_workgroup_size: 64
    .name:           _ZL26flash_attn_combine_resultsILi64EEvPKfPK15HIP_vector_typeIfLj2EEPfi
    .private_segment_fixed_size: 0
    .sgpr_count:     20
    .sgpr_spill_count: 0
    .symbol:         _ZL26flash_attn_combine_resultsILi64EEvPKfPK15HIP_vector_typeIfLj2EEPfi.kd
    .uniform_work_group_size: 1
    .uses_dynamic_stack: false
    .vgpr_count:     52
    .vgpr_spill_count: 0
    .wavefront_size: 32
    .workgroup_processor_mode: 1
  - .args:
      - .address_space:  global
        .offset:         0
        .size:           8
        .value_kind:     global_buffer
      - .address_space:  global
        .offset:         8
        .size:           8
        .value_kind:     global_buffer
      - .address_space:  global
        .offset:         16
        .size:           8
        .value_kind:     global_buffer
      - .address_space:  global
        .offset:         24
        .size:           8
        .value_kind:     global_buffer
      - .address_space:  global
        .offset:         32
        .size:           8
        .value_kind:     global_buffer
      - .address_space:  global
        .offset:         40
        .size:           8
        .value_kind:     global_buffer
      - .address_space:  global
        .offset:         48
        .size:           8
        .value_kind:     global_buffer
      - .address_space:  global
        .offset:         56
        .size:           8
        .value_kind:     global_buffer
      - .offset:         64
        .size:           4
        .value_kind:     by_value
      - .offset:         68
        .size:           4
        .value_kind:     by_value
      - .offset:         72
        .size:           4
        .value_kind:     by_value
      - .offset:         76
        .size:           4
        .value_kind:     by_value
      - .offset:         80
        .size:           4
        .value_kind:     by_value
      - .offset:         84
        .size:           4
        .value_kind:     by_value
      - .offset:         88
        .size:           4
        .value_kind:     by_value
      - .offset:         92
        .size:           12
        .value_kind:     by_value
      - .offset:         104
        .size:           4
        .value_kind:     by_value
      - .offset:         108
        .size:           4
        .value_kind:     by_value
      - .offset:         112
        .size:           4
        .value_kind:     by_value
      - .offset:         116
        .size:           4
        .value_kind:     by_value
      - .offset:         120
        .size:           4
        .value_kind:     by_value
      - .offset:         124
        .size:           4
        .value_kind:     by_value
      - .offset:         128
        .size:           4
        .value_kind:     by_value
      - .offset:         132
        .size:           4
        .value_kind:     by_value
      - .offset:         136
        .size:           4
        .value_kind:     by_value
      - .offset:         140
        .size:           4
        .value_kind:     by_value
      - .offset:         144
        .size:           4
        .value_kind:     by_value
      - .offset:         152
        .size:           8
        .value_kind:     by_value
      - .offset:         160
        .size:           4
        .value_kind:     by_value
      - .offset:         164
        .size:           4
        .value_kind:     by_value
      - .offset:         168
        .size:           8
        .value_kind:     by_value
      - .offset:         176
        .size:           4
        .value_kind:     by_value
      - .offset:         180
        .size:           4
        .value_kind:     by_value
      - .offset:         184
        .size:           4
        .value_kind:     by_value
      - .offset:         188
        .size:           4
        .value_kind:     by_value
      - .offset:         192
        .size:           4
        .value_kind:     by_value
      - .offset:         200
        .size:           8
        .value_kind:     by_value
      - .offset:         208
        .size:           4
        .value_kind:     hidden_block_count_x
      - .offset:         212
        .size:           4
        .value_kind:     hidden_block_count_y
      - .offset:         216
        .size:           4
        .value_kind:     hidden_block_count_z
      - .offset:         220
        .size:           2
        .value_kind:     hidden_group_size_x
      - .offset:         222
        .size:           2
        .value_kind:     hidden_group_size_y
      - .offset:         224
        .size:           2
        .value_kind:     hidden_group_size_z
      - .offset:         226
        .size:           2
        .value_kind:     hidden_remainder_x
      - .offset:         228
        .size:           2
        .value_kind:     hidden_remainder_y
      - .offset:         230
        .size:           2
        .value_kind:     hidden_remainder_z
      - .offset:         248
        .size:           8
        .value_kind:     hidden_global_offset_x
      - .offset:         256
        .size:           8
        .value_kind:     hidden_global_offset_y
      - .offset:         264
        .size:           8
        .value_kind:     hidden_global_offset_z
      - .offset:         272
        .size:           2
        .value_kind:     hidden_grid_dims
      - .offset:         288
        .size:           8
        .value_kind:     hidden_hostcall_buffer
    .group_segment_fixed_size: 0
    .kernarg_segment_align: 8
    .kernarg_segment_size: 464
    .language:       OpenCL C
    .language_version:
      - 2
      - 0
    .max_flat_workgroup_size: 32
    .name:           _ZL18flash_attn_ext_f16ILi80ELi80ELi8ELi1ELb0ELb0EEvPKcS1_S1_S1_S1_PKiPfP15HIP_vector_typeIfLj2EEffffjfiS5_IjLj3EEiiiiiiiiiiiliiliiiiil
    .private_segment_fixed_size: 16
    .sgpr_count:     36
    .sgpr_spill_count: 0
    .symbol:         _ZL18flash_attn_ext_f16ILi80ELi80ELi8ELi1ELb0ELb0EEvPKcS1_S1_S1_S1_PKiPfP15HIP_vector_typeIfLj2EEffffjfiS5_IjLj3EEiiiiiiiiiiiliiliiiiil.kd
    .uniform_work_group_size: 1
    .uses_dynamic_stack: false
    .vgpr_count:     40
    .vgpr_spill_count: 0
    .wavefront_size: 32
    .workgroup_processor_mode: 1
  - .args:
      - .address_space:  global
        .offset:         0
        .size:           8
        .value_kind:     global_buffer
      - .address_space:  global
        .offset:         8
        .size:           8
        .value_kind:     global_buffer
      - .address_space:  global
        .offset:         16
        .size:           8
        .value_kind:     global_buffer
      - .address_space:  global
        .offset:         24
        .size:           8
        .value_kind:     global_buffer
      - .address_space:  global
        .offset:         32
        .size:           8
        .value_kind:     global_buffer
      - .address_space:  global
        .offset:         40
        .size:           8
        .value_kind:     global_buffer
      - .address_space:  global
        .offset:         48
        .size:           8
        .value_kind:     global_buffer
      - .address_space:  global
        .offset:         56
        .size:           8
        .value_kind:     global_buffer
      - .offset:         64
        .size:           4
        .value_kind:     by_value
      - .offset:         68
        .size:           4
        .value_kind:     by_value
      - .offset:         72
        .size:           4
        .value_kind:     by_value
      - .offset:         76
        .size:           4
        .value_kind:     by_value
      - .offset:         80
        .size:           4
        .value_kind:     by_value
      - .offset:         84
        .size:           4
        .value_kind:     by_value
      - .offset:         88
        .size:           4
        .value_kind:     by_value
      - .offset:         92
        .size:           12
        .value_kind:     by_value
      - .offset:         104
        .size:           4
        .value_kind:     by_value
      - .offset:         108
        .size:           4
        .value_kind:     by_value
      - .offset:         112
        .size:           4
        .value_kind:     by_value
      - .offset:         116
        .size:           4
        .value_kind:     by_value
      - .offset:         120
        .size:           4
        .value_kind:     by_value
      - .offset:         124
        .size:           4
        .value_kind:     by_value
      - .offset:         128
        .size:           4
        .value_kind:     by_value
      - .offset:         132
        .size:           4
        .value_kind:     by_value
      - .offset:         136
        .size:           4
        .value_kind:     by_value
      - .offset:         140
        .size:           4
        .value_kind:     by_value
      - .offset:         144
        .size:           4
        .value_kind:     by_value
      - .offset:         152
        .size:           8
        .value_kind:     by_value
      - .offset:         160
        .size:           4
        .value_kind:     by_value
      - .offset:         164
        .size:           4
        .value_kind:     by_value
      - .offset:         168
        .size:           8
        .value_kind:     by_value
      - .offset:         176
        .size:           4
        .value_kind:     by_value
      - .offset:         180
        .size:           4
        .value_kind:     by_value
      - .offset:         184
        .size:           4
        .value_kind:     by_value
      - .offset:         188
        .size:           4
        .value_kind:     by_value
      - .offset:         192
        .size:           4
        .value_kind:     by_value
      - .offset:         200
        .size:           8
        .value_kind:     by_value
      - .offset:         208
        .size:           4
        .value_kind:     hidden_block_count_x
      - .offset:         212
        .size:           4
        .value_kind:     hidden_block_count_y
      - .offset:         216
        .size:           4
        .value_kind:     hidden_block_count_z
      - .offset:         220
        .size:           2
        .value_kind:     hidden_group_size_x
      - .offset:         222
        .size:           2
        .value_kind:     hidden_group_size_y
      - .offset:         224
        .size:           2
        .value_kind:     hidden_group_size_z
      - .offset:         226
        .size:           2
        .value_kind:     hidden_remainder_x
      - .offset:         228
        .size:           2
        .value_kind:     hidden_remainder_y
      - .offset:         230
        .size:           2
        .value_kind:     hidden_remainder_z
      - .offset:         248
        .size:           8
        .value_kind:     hidden_global_offset_x
      - .offset:         256
        .size:           8
        .value_kind:     hidden_global_offset_y
      - .offset:         264
        .size:           8
        .value_kind:     hidden_global_offset_z
      - .offset:         272
        .size:           2
        .value_kind:     hidden_grid_dims
      - .offset:         288
        .size:           8
        .value_kind:     hidden_hostcall_buffer
    .group_segment_fixed_size: 0
    .kernarg_segment_align: 8
    .kernarg_segment_size: 464
    .language:       OpenCL C
    .language_version:
      - 2
      - 0
    .max_flat_workgroup_size: 32
    .name:           _ZL18flash_attn_ext_f16ILi80ELi80ELi8ELi1ELb1ELb0EEvPKcS1_S1_S1_S1_PKiPfP15HIP_vector_typeIfLj2EEffffjfiS5_IjLj3EEiiiiiiiiiiiliiliiiiil
    .private_segment_fixed_size: 16
    .sgpr_count:     36
    .sgpr_spill_count: 0
    .symbol:         _ZL18flash_attn_ext_f16ILi80ELi80ELi8ELi1ELb1ELb0EEvPKcS1_S1_S1_S1_PKiPfP15HIP_vector_typeIfLj2EEffffjfiS5_IjLj3EEiiiiiiiiiiiliiliiiiil.kd
    .uniform_work_group_size: 1
    .uses_dynamic_stack: false
    .vgpr_count:     40
    .vgpr_spill_count: 0
    .wavefront_size: 32
    .workgroup_processor_mode: 1
  - .args:
      - .address_space:  global
        .offset:         0
        .size:           8
        .value_kind:     global_buffer
      - .address_space:  global
        .offset:         8
        .size:           8
        .value_kind:     global_buffer
      - .offset:         16
        .size:           4
        .value_kind:     by_value
      - .offset:         20
        .size:           4
        .value_kind:     by_value
      - .offset:         24
        .size:           4
        .value_kind:     by_value
      - .offset:         28
        .size:           4
        .value_kind:     by_value
      - .offset:         32
        .size:           4
        .value_kind:     by_value
      - .offset:         36
        .size:           4
        .value_kind:     by_value
      - .offset:         40
        .size:           12
        .value_kind:     by_value
      - .offset:         52
        .size:           12
        .value_kind:     by_value
      - .offset:         64
        .size:           12
        .value_kind:     by_value
    .group_segment_fixed_size: 0
    .kernarg_segment_align: 8
    .kernarg_segment_size: 76
    .language:       OpenCL C
    .language_version:
      - 2
      - 0
    .max_flat_workgroup_size: 80
    .name:           _ZL33flash_attn_stream_k_fixup_uniformILi80ELi8ELi1EEvPfPK15HIP_vector_typeIfLj2EEiiiiiiS1_IjLj3EES5_S5_
    .private_segment_fixed_size: 0
    .sgpr_count:     26
    .sgpr_spill_count: 0
    .symbol:         _ZL33flash_attn_stream_k_fixup_uniformILi80ELi8ELi1EEvPfPK15HIP_vector_typeIfLj2EEiiiiiiS1_IjLj3EES5_S5_.kd
    .uniform_work_group_size: 1
    .uses_dynamic_stack: false
    .vgpr_count:     15
    .vgpr_spill_count: 0
    .wavefront_size: 32
    .workgroup_processor_mode: 1
  - .args:
      - .address_space:  global
        .offset:         0
        .size:           8
        .value_kind:     global_buffer
      - .address_space:  global
        .offset:         8
        .size:           8
        .value_kind:     global_buffer
      - .offset:         16
        .size:           4
        .value_kind:     by_value
      - .offset:         20
        .size:           4
        .value_kind:     by_value
      - .offset:         24
        .size:           4
        .value_kind:     by_value
      - .offset:         28
        .size:           4
        .value_kind:     by_value
      - .offset:         32
        .size:           12
        .value_kind:     by_value
      - .offset:         44
        .size:           12
        .value_kind:     by_value
      - .offset:         56
        .size:           12
        .value_kind:     by_value
      - .offset:         68
        .size:           12
        .value_kind:     by_value
      - .offset:         80
        .size:           4
        .value_kind:     hidden_block_count_x
      - .offset:         84
        .size:           4
        .value_kind:     hidden_block_count_y
      - .offset:         88
        .size:           4
        .value_kind:     hidden_block_count_z
      - .offset:         92
        .size:           2
        .value_kind:     hidden_group_size_x
      - .offset:         94
        .size:           2
        .value_kind:     hidden_group_size_y
      - .offset:         96
        .size:           2
        .value_kind:     hidden_group_size_z
      - .offset:         98
        .size:           2
        .value_kind:     hidden_remainder_x
      - .offset:         100
        .size:           2
        .value_kind:     hidden_remainder_y
      - .offset:         102
        .size:           2
        .value_kind:     hidden_remainder_z
      - .offset:         120
        .size:           8
        .value_kind:     hidden_global_offset_x
      - .offset:         128
        .size:           8
        .value_kind:     hidden_global_offset_y
      - .offset:         136
        .size:           8
        .value_kind:     hidden_global_offset_z
      - .offset:         144
        .size:           2
        .value_kind:     hidden_grid_dims
    .group_segment_fixed_size: 0
    .kernarg_segment_align: 8
    .kernarg_segment_size: 336
    .language:       OpenCL C
    .language_version:
      - 2
      - 0
    .max_flat_workgroup_size: 80
    .name:           _ZL33flash_attn_stream_k_fixup_generalILi80ELi8ELi1EEvPfPK15HIP_vector_typeIfLj2EEiiiiS1_IjLj3EES5_S5_S5_
    .private_segment_fixed_size: 0
    .sgpr_count:     33
    .sgpr_spill_count: 0
    .symbol:         _ZL33flash_attn_stream_k_fixup_generalILi80ELi8ELi1EEvPfPK15HIP_vector_typeIfLj2EEiiiiS1_IjLj3EES5_S5_S5_.kd
    .uniform_work_group_size: 1
    .uses_dynamic_stack: false
    .vgpr_count:     17
    .vgpr_spill_count: 0
    .wavefront_size: 32
    .workgroup_processor_mode: 1
  - .args:
      - .address_space:  global
        .offset:         0
        .size:           8
        .value_kind:     global_buffer
      - .address_space:  global
        .offset:         8
        .size:           8
        .value_kind:     global_buffer
      - .address_space:  global
        .offset:         16
        .size:           8
        .value_kind:     global_buffer
      - .offset:         24
        .size:           4
        .value_kind:     by_value
      - .offset:         32
        .size:           4
        .value_kind:     hidden_block_count_x
      - .offset:         36
        .size:           4
        .value_kind:     hidden_block_count_y
      - .offset:         40
        .size:           4
        .value_kind:     hidden_block_count_z
      - .offset:         44
        .size:           2
        .value_kind:     hidden_group_size_x
      - .offset:         46
        .size:           2
        .value_kind:     hidden_group_size_y
      - .offset:         48
        .size:           2
        .value_kind:     hidden_group_size_z
      - .offset:         50
        .size:           2
        .value_kind:     hidden_remainder_x
      - .offset:         52
        .size:           2
        .value_kind:     hidden_remainder_y
      - .offset:         54
        .size:           2
        .value_kind:     hidden_remainder_z
      - .offset:         72
        .size:           8
        .value_kind:     hidden_global_offset_x
      - .offset:         80
        .size:           8
        .value_kind:     hidden_global_offset_y
      - .offset:         88
        .size:           8
        .value_kind:     hidden_global_offset_z
      - .offset:         96
        .size:           2
        .value_kind:     hidden_grid_dims
      - .offset:         152
        .size:           4
        .value_kind:     hidden_dynamic_lds_size
    .group_segment_fixed_size: 0
    .kernarg_segment_align: 8
    .kernarg_segment_size: 288
    .language:       OpenCL C
    .language_version:
      - 2
      - 0
    .max_flat_workgroup_size: 80
    .name:           _ZL26flash_attn_combine_resultsILi80EEvPKfPK15HIP_vector_typeIfLj2EEPfi
    .private_segment_fixed_size: 0
    .sgpr_count:     21
    .sgpr_spill_count: 0
    .symbol:         _ZL26flash_attn_combine_resultsILi80EEvPKfPK15HIP_vector_typeIfLj2EEPfi.kd
    .uniform_work_group_size: 1
    .uses_dynamic_stack: false
    .vgpr_count:     52
    .vgpr_spill_count: 0
    .wavefront_size: 32
    .workgroup_processor_mode: 1
  - .args:
      - .address_space:  global
        .offset:         0
        .size:           8
        .value_kind:     global_buffer
      - .address_space:  global
        .offset:         8
        .size:           8
        .value_kind:     global_buffer
      - .address_space:  global
        .offset:         16
        .size:           8
        .value_kind:     global_buffer
      - .address_space:  global
        .offset:         24
        .size:           8
        .value_kind:     global_buffer
      - .address_space:  global
        .offset:         32
        .size:           8
        .value_kind:     global_buffer
      - .address_space:  global
        .offset:         40
        .size:           8
        .value_kind:     global_buffer
      - .address_space:  global
        .offset:         48
        .size:           8
        .value_kind:     global_buffer
      - .address_space:  global
        .offset:         56
        .size:           8
        .value_kind:     global_buffer
      - .offset:         64
        .size:           4
        .value_kind:     by_value
      - .offset:         68
        .size:           4
        .value_kind:     by_value
      - .offset:         72
        .size:           4
        .value_kind:     by_value
      - .offset:         76
        .size:           4
        .value_kind:     by_value
      - .offset:         80
        .size:           4
        .value_kind:     by_value
      - .offset:         84
        .size:           4
        .value_kind:     by_value
      - .offset:         88
        .size:           4
        .value_kind:     by_value
      - .offset:         92
        .size:           12
        .value_kind:     by_value
      - .offset:         104
        .size:           4
        .value_kind:     by_value
      - .offset:         108
        .size:           4
        .value_kind:     by_value
      - .offset:         112
        .size:           4
        .value_kind:     by_value
      - .offset:         116
        .size:           4
        .value_kind:     by_value
      - .offset:         120
        .size:           4
        .value_kind:     by_value
      - .offset:         124
        .size:           4
        .value_kind:     by_value
      - .offset:         128
        .size:           4
        .value_kind:     by_value
      - .offset:         132
        .size:           4
        .value_kind:     by_value
      - .offset:         136
        .size:           4
        .value_kind:     by_value
      - .offset:         140
        .size:           4
        .value_kind:     by_value
      - .offset:         144
        .size:           4
        .value_kind:     by_value
      - .offset:         152
        .size:           8
        .value_kind:     by_value
      - .offset:         160
        .size:           4
        .value_kind:     by_value
      - .offset:         164
        .size:           4
        .value_kind:     by_value
      - .offset:         168
        .size:           8
        .value_kind:     by_value
      - .offset:         176
        .size:           4
        .value_kind:     by_value
      - .offset:         180
        .size:           4
        .value_kind:     by_value
      - .offset:         184
        .size:           4
        .value_kind:     by_value
      - .offset:         188
        .size:           4
        .value_kind:     by_value
      - .offset:         192
        .size:           4
        .value_kind:     by_value
      - .offset:         200
        .size:           8
        .value_kind:     by_value
      - .offset:         208
        .size:           4
        .value_kind:     hidden_block_count_x
      - .offset:         212
        .size:           4
        .value_kind:     hidden_block_count_y
      - .offset:         216
        .size:           4
        .value_kind:     hidden_block_count_z
      - .offset:         220
        .size:           2
        .value_kind:     hidden_group_size_x
      - .offset:         222
        .size:           2
        .value_kind:     hidden_group_size_y
      - .offset:         224
        .size:           2
        .value_kind:     hidden_group_size_z
      - .offset:         226
        .size:           2
        .value_kind:     hidden_remainder_x
      - .offset:         228
        .size:           2
        .value_kind:     hidden_remainder_y
      - .offset:         230
        .size:           2
        .value_kind:     hidden_remainder_z
      - .offset:         248
        .size:           8
        .value_kind:     hidden_global_offset_x
      - .offset:         256
        .size:           8
        .value_kind:     hidden_global_offset_y
      - .offset:         264
        .size:           8
        .value_kind:     hidden_global_offset_z
      - .offset:         272
        .size:           2
        .value_kind:     hidden_grid_dims
      - .offset:         288
        .size:           8
        .value_kind:     hidden_hostcall_buffer
    .group_segment_fixed_size: 0
    .kernarg_segment_align: 8
    .kernarg_segment_size: 464
    .language:       OpenCL C
    .language_version:
      - 2
      - 0
    .max_flat_workgroup_size: 32
    .name:           _ZL18flash_attn_ext_f16ILi96ELi96ELi8ELi1ELb0ELb0EEvPKcS1_S1_S1_S1_PKiPfP15HIP_vector_typeIfLj2EEffffjfiS5_IjLj3EEiiiiiiiiiiiliiliiiiil
    .private_segment_fixed_size: 16
    .sgpr_count:     36
    .sgpr_spill_count: 0
    .symbol:         _ZL18flash_attn_ext_f16ILi96ELi96ELi8ELi1ELb0ELb0EEvPKcS1_S1_S1_S1_PKiPfP15HIP_vector_typeIfLj2EEffffjfiS5_IjLj3EEiiiiiiiiiiiliiliiiiil.kd
    .uniform_work_group_size: 1
    .uses_dynamic_stack: false
    .vgpr_count:     40
    .vgpr_spill_count: 0
    .wavefront_size: 32
    .workgroup_processor_mode: 1
  - .args:
      - .address_space:  global
        .offset:         0
        .size:           8
        .value_kind:     global_buffer
      - .address_space:  global
        .offset:         8
        .size:           8
        .value_kind:     global_buffer
      - .address_space:  global
        .offset:         16
        .size:           8
        .value_kind:     global_buffer
      - .address_space:  global
        .offset:         24
        .size:           8
        .value_kind:     global_buffer
      - .address_space:  global
        .offset:         32
        .size:           8
        .value_kind:     global_buffer
      - .address_space:  global
        .offset:         40
        .size:           8
        .value_kind:     global_buffer
      - .address_space:  global
        .offset:         48
        .size:           8
        .value_kind:     global_buffer
      - .address_space:  global
        .offset:         56
        .size:           8
        .value_kind:     global_buffer
      - .offset:         64
        .size:           4
        .value_kind:     by_value
      - .offset:         68
        .size:           4
        .value_kind:     by_value
      - .offset:         72
        .size:           4
        .value_kind:     by_value
      - .offset:         76
        .size:           4
        .value_kind:     by_value
      - .offset:         80
        .size:           4
        .value_kind:     by_value
      - .offset:         84
        .size:           4
        .value_kind:     by_value
      - .offset:         88
        .size:           4
        .value_kind:     by_value
      - .offset:         92
        .size:           12
        .value_kind:     by_value
      - .offset:         104
        .size:           4
        .value_kind:     by_value
      - .offset:         108
        .size:           4
        .value_kind:     by_value
      - .offset:         112
        .size:           4
        .value_kind:     by_value
      - .offset:         116
        .size:           4
        .value_kind:     by_value
      - .offset:         120
        .size:           4
        .value_kind:     by_value
      - .offset:         124
        .size:           4
        .value_kind:     by_value
      - .offset:         128
        .size:           4
        .value_kind:     by_value
      - .offset:         132
        .size:           4
        .value_kind:     by_value
      - .offset:         136
        .size:           4
        .value_kind:     by_value
      - .offset:         140
        .size:           4
        .value_kind:     by_value
      - .offset:         144
        .size:           4
        .value_kind:     by_value
      - .offset:         152
        .size:           8
        .value_kind:     by_value
      - .offset:         160
        .size:           4
        .value_kind:     by_value
      - .offset:         164
        .size:           4
        .value_kind:     by_value
      - .offset:         168
        .size:           8
        .value_kind:     by_value
      - .offset:         176
        .size:           4
        .value_kind:     by_value
      - .offset:         180
        .size:           4
        .value_kind:     by_value
      - .offset:         184
        .size:           4
        .value_kind:     by_value
      - .offset:         188
        .size:           4
        .value_kind:     by_value
      - .offset:         192
        .size:           4
        .value_kind:     by_value
      - .offset:         200
        .size:           8
        .value_kind:     by_value
      - .offset:         208
        .size:           4
        .value_kind:     hidden_block_count_x
      - .offset:         212
        .size:           4
        .value_kind:     hidden_block_count_y
      - .offset:         216
        .size:           4
        .value_kind:     hidden_block_count_z
      - .offset:         220
        .size:           2
        .value_kind:     hidden_group_size_x
      - .offset:         222
        .size:           2
        .value_kind:     hidden_group_size_y
      - .offset:         224
        .size:           2
        .value_kind:     hidden_group_size_z
      - .offset:         226
        .size:           2
        .value_kind:     hidden_remainder_x
      - .offset:         228
        .size:           2
        .value_kind:     hidden_remainder_y
      - .offset:         230
        .size:           2
        .value_kind:     hidden_remainder_z
      - .offset:         248
        .size:           8
        .value_kind:     hidden_global_offset_x
      - .offset:         256
        .size:           8
        .value_kind:     hidden_global_offset_y
      - .offset:         264
        .size:           8
        .value_kind:     hidden_global_offset_z
      - .offset:         272
        .size:           2
        .value_kind:     hidden_grid_dims
      - .offset:         288
        .size:           8
        .value_kind:     hidden_hostcall_buffer
    .group_segment_fixed_size: 0
    .kernarg_segment_align: 8
    .kernarg_segment_size: 464
    .language:       OpenCL C
    .language_version:
      - 2
      - 0
    .max_flat_workgroup_size: 32
    .name:           _ZL18flash_attn_ext_f16ILi96ELi96ELi8ELi1ELb1ELb0EEvPKcS1_S1_S1_S1_PKiPfP15HIP_vector_typeIfLj2EEffffjfiS5_IjLj3EEiiiiiiiiiiiliiliiiiil
    .private_segment_fixed_size: 16
    .sgpr_count:     36
    .sgpr_spill_count: 0
    .symbol:         _ZL18flash_attn_ext_f16ILi96ELi96ELi8ELi1ELb1ELb0EEvPKcS1_S1_S1_S1_PKiPfP15HIP_vector_typeIfLj2EEffffjfiS5_IjLj3EEiiiiiiiiiiiliiliiiiil.kd
    .uniform_work_group_size: 1
    .uses_dynamic_stack: false
    .vgpr_count:     40
    .vgpr_spill_count: 0
    .wavefront_size: 32
    .workgroup_processor_mode: 1
  - .args:
      - .address_space:  global
        .offset:         0
        .size:           8
        .value_kind:     global_buffer
      - .address_space:  global
        .offset:         8
        .size:           8
        .value_kind:     global_buffer
      - .offset:         16
        .size:           4
        .value_kind:     by_value
      - .offset:         20
        .size:           4
        .value_kind:     by_value
      - .offset:         24
        .size:           4
        .value_kind:     by_value
      - .offset:         28
        .size:           4
        .value_kind:     by_value
      - .offset:         32
        .size:           4
        .value_kind:     by_value
      - .offset:         36
        .size:           4
        .value_kind:     by_value
      - .offset:         40
        .size:           12
        .value_kind:     by_value
      - .offset:         52
        .size:           12
        .value_kind:     by_value
      - .offset:         64
        .size:           12
        .value_kind:     by_value
    .group_segment_fixed_size: 0
    .kernarg_segment_align: 8
    .kernarg_segment_size: 76
    .language:       OpenCL C
    .language_version:
      - 2
      - 0
    .max_flat_workgroup_size: 96
    .name:           _ZL33flash_attn_stream_k_fixup_uniformILi96ELi8ELi1EEvPfPK15HIP_vector_typeIfLj2EEiiiiiiS1_IjLj3EES5_S5_
    .private_segment_fixed_size: 0
    .sgpr_count:     26
    .sgpr_spill_count: 0
    .symbol:         _ZL33flash_attn_stream_k_fixup_uniformILi96ELi8ELi1EEvPfPK15HIP_vector_typeIfLj2EEiiiiiiS1_IjLj3EES5_S5_.kd
    .uniform_work_group_size: 1
    .uses_dynamic_stack: false
    .vgpr_count:     15
    .vgpr_spill_count: 0
    .wavefront_size: 32
    .workgroup_processor_mode: 1
  - .args:
      - .address_space:  global
        .offset:         0
        .size:           8
        .value_kind:     global_buffer
      - .address_space:  global
        .offset:         8
        .size:           8
        .value_kind:     global_buffer
      - .offset:         16
        .size:           4
        .value_kind:     by_value
      - .offset:         20
        .size:           4
        .value_kind:     by_value
      - .offset:         24
        .size:           4
        .value_kind:     by_value
      - .offset:         28
        .size:           4
        .value_kind:     by_value
      - .offset:         32
        .size:           12
        .value_kind:     by_value
      - .offset:         44
        .size:           12
        .value_kind:     by_value
      - .offset:         56
        .size:           12
        .value_kind:     by_value
      - .offset:         68
        .size:           12
        .value_kind:     by_value
      - .offset:         80
        .size:           4
        .value_kind:     hidden_block_count_x
      - .offset:         84
        .size:           4
        .value_kind:     hidden_block_count_y
      - .offset:         88
        .size:           4
        .value_kind:     hidden_block_count_z
      - .offset:         92
        .size:           2
        .value_kind:     hidden_group_size_x
      - .offset:         94
        .size:           2
        .value_kind:     hidden_group_size_y
      - .offset:         96
        .size:           2
        .value_kind:     hidden_group_size_z
      - .offset:         98
        .size:           2
        .value_kind:     hidden_remainder_x
      - .offset:         100
        .size:           2
        .value_kind:     hidden_remainder_y
      - .offset:         102
        .size:           2
        .value_kind:     hidden_remainder_z
      - .offset:         120
        .size:           8
        .value_kind:     hidden_global_offset_x
      - .offset:         128
        .size:           8
        .value_kind:     hidden_global_offset_y
      - .offset:         136
        .size:           8
        .value_kind:     hidden_global_offset_z
      - .offset:         144
        .size:           2
        .value_kind:     hidden_grid_dims
    .group_segment_fixed_size: 0
    .kernarg_segment_align: 8
    .kernarg_segment_size: 336
    .language:       OpenCL C
    .language_version:
      - 2
      - 0
    .max_flat_workgroup_size: 96
    .name:           _ZL33flash_attn_stream_k_fixup_generalILi96ELi8ELi1EEvPfPK15HIP_vector_typeIfLj2EEiiiiS1_IjLj3EES5_S5_S5_
    .private_segment_fixed_size: 0
    .sgpr_count:     33
    .sgpr_spill_count: 0
    .symbol:         _ZL33flash_attn_stream_k_fixup_generalILi96ELi8ELi1EEvPfPK15HIP_vector_typeIfLj2EEiiiiS1_IjLj3EES5_S5_S5_.kd
    .uniform_work_group_size: 1
    .uses_dynamic_stack: false
    .vgpr_count:     17
    .vgpr_spill_count: 0
    .wavefront_size: 32
    .workgroup_processor_mode: 1
  - .args:
      - .address_space:  global
        .offset:         0
        .size:           8
        .value_kind:     global_buffer
      - .address_space:  global
        .offset:         8
        .size:           8
        .value_kind:     global_buffer
      - .address_space:  global
        .offset:         16
        .size:           8
        .value_kind:     global_buffer
      - .offset:         24
        .size:           4
        .value_kind:     by_value
      - .offset:         32
        .size:           4
        .value_kind:     hidden_block_count_x
      - .offset:         36
        .size:           4
        .value_kind:     hidden_block_count_y
      - .offset:         40
        .size:           4
        .value_kind:     hidden_block_count_z
      - .offset:         44
        .size:           2
        .value_kind:     hidden_group_size_x
      - .offset:         46
        .size:           2
        .value_kind:     hidden_group_size_y
      - .offset:         48
        .size:           2
        .value_kind:     hidden_group_size_z
      - .offset:         50
        .size:           2
        .value_kind:     hidden_remainder_x
      - .offset:         52
        .size:           2
        .value_kind:     hidden_remainder_y
      - .offset:         54
        .size:           2
        .value_kind:     hidden_remainder_z
      - .offset:         72
        .size:           8
        .value_kind:     hidden_global_offset_x
      - .offset:         80
        .size:           8
        .value_kind:     hidden_global_offset_y
      - .offset:         88
        .size:           8
        .value_kind:     hidden_global_offset_z
      - .offset:         96
        .size:           2
        .value_kind:     hidden_grid_dims
      - .offset:         152
        .size:           4
        .value_kind:     hidden_dynamic_lds_size
    .group_segment_fixed_size: 0
    .kernarg_segment_align: 8
    .kernarg_segment_size: 288
    .language:       OpenCL C
    .language_version:
      - 2
      - 0
    .max_flat_workgroup_size: 96
    .name:           _ZL26flash_attn_combine_resultsILi96EEvPKfPK15HIP_vector_typeIfLj2EEPfi
    .private_segment_fixed_size: 0
    .sgpr_count:     22
    .sgpr_spill_count: 0
    .symbol:         _ZL26flash_attn_combine_resultsILi96EEvPKfPK15HIP_vector_typeIfLj2EEPfi.kd
    .uniform_work_group_size: 1
    .uses_dynamic_stack: false
    .vgpr_count:     52
    .vgpr_spill_count: 0
    .wavefront_size: 32
    .workgroup_processor_mode: 1
  - .args:
      - .address_space:  global
        .offset:         0
        .size:           8
        .value_kind:     global_buffer
      - .address_space:  global
        .offset:         8
        .size:           8
        .value_kind:     global_buffer
      - .address_space:  global
        .offset:         16
        .size:           8
        .value_kind:     global_buffer
      - .address_space:  global
        .offset:         24
        .size:           8
        .value_kind:     global_buffer
      - .address_space:  global
        .offset:         32
        .size:           8
        .value_kind:     global_buffer
      - .address_space:  global
        .offset:         40
        .size:           8
        .value_kind:     global_buffer
      - .address_space:  global
        .offset:         48
        .size:           8
        .value_kind:     global_buffer
      - .address_space:  global
        .offset:         56
        .size:           8
        .value_kind:     global_buffer
      - .offset:         64
        .size:           4
        .value_kind:     by_value
      - .offset:         68
        .size:           4
        .value_kind:     by_value
      - .offset:         72
        .size:           4
        .value_kind:     by_value
      - .offset:         76
        .size:           4
        .value_kind:     by_value
      - .offset:         80
        .size:           4
        .value_kind:     by_value
      - .offset:         84
        .size:           4
        .value_kind:     by_value
      - .offset:         88
        .size:           4
        .value_kind:     by_value
      - .offset:         92
        .size:           12
        .value_kind:     by_value
      - .offset:         104
        .size:           4
        .value_kind:     by_value
      - .offset:         108
        .size:           4
        .value_kind:     by_value
      - .offset:         112
        .size:           4
        .value_kind:     by_value
      - .offset:         116
        .size:           4
        .value_kind:     by_value
      - .offset:         120
        .size:           4
        .value_kind:     by_value
      - .offset:         124
        .size:           4
        .value_kind:     by_value
      - .offset:         128
        .size:           4
        .value_kind:     by_value
      - .offset:         132
        .size:           4
        .value_kind:     by_value
      - .offset:         136
        .size:           4
        .value_kind:     by_value
      - .offset:         140
        .size:           4
        .value_kind:     by_value
      - .offset:         144
        .size:           4
        .value_kind:     by_value
      - .offset:         152
        .size:           8
        .value_kind:     by_value
      - .offset:         160
        .size:           4
        .value_kind:     by_value
      - .offset:         164
        .size:           4
        .value_kind:     by_value
      - .offset:         168
        .size:           8
        .value_kind:     by_value
      - .offset:         176
        .size:           4
        .value_kind:     by_value
      - .offset:         180
        .size:           4
        .value_kind:     by_value
      - .offset:         184
        .size:           4
        .value_kind:     by_value
      - .offset:         188
        .size:           4
        .value_kind:     by_value
      - .offset:         192
        .size:           4
        .value_kind:     by_value
      - .offset:         200
        .size:           8
        .value_kind:     by_value
      - .offset:         208
        .size:           4
        .value_kind:     hidden_block_count_x
      - .offset:         212
        .size:           4
        .value_kind:     hidden_block_count_y
      - .offset:         216
        .size:           4
        .value_kind:     hidden_block_count_z
      - .offset:         220
        .size:           2
        .value_kind:     hidden_group_size_x
      - .offset:         222
        .size:           2
        .value_kind:     hidden_group_size_y
      - .offset:         224
        .size:           2
        .value_kind:     hidden_group_size_z
      - .offset:         226
        .size:           2
        .value_kind:     hidden_remainder_x
      - .offset:         228
        .size:           2
        .value_kind:     hidden_remainder_y
      - .offset:         230
        .size:           2
        .value_kind:     hidden_remainder_z
      - .offset:         248
        .size:           8
        .value_kind:     hidden_global_offset_x
      - .offset:         256
        .size:           8
        .value_kind:     hidden_global_offset_y
      - .offset:         264
        .size:           8
        .value_kind:     hidden_global_offset_z
      - .offset:         272
        .size:           2
        .value_kind:     hidden_grid_dims
      - .offset:         288
        .size:           8
        .value_kind:     hidden_hostcall_buffer
    .group_segment_fixed_size: 0
    .kernarg_segment_align: 8
    .kernarg_segment_size: 464
    .language:       OpenCL C
    .language_version:
      - 2
      - 0
    .max_flat_workgroup_size: 32
    .name:           _ZL18flash_attn_ext_f16ILi112ELi112ELi8ELi1ELb0ELb0EEvPKcS1_S1_S1_S1_PKiPfP15HIP_vector_typeIfLj2EEffffjfiS5_IjLj3EEiiiiiiiiiiiliiliiiiil
    .private_segment_fixed_size: 16
    .sgpr_count:     36
    .sgpr_spill_count: 0
    .symbol:         _ZL18flash_attn_ext_f16ILi112ELi112ELi8ELi1ELb0ELb0EEvPKcS1_S1_S1_S1_PKiPfP15HIP_vector_typeIfLj2EEffffjfiS5_IjLj3EEiiiiiiiiiiiliiliiiiil.kd
    .uniform_work_group_size: 1
    .uses_dynamic_stack: false
    .vgpr_count:     40
    .vgpr_spill_count: 0
    .wavefront_size: 32
    .workgroup_processor_mode: 1
  - .args:
      - .address_space:  global
        .offset:         0
        .size:           8
        .value_kind:     global_buffer
      - .address_space:  global
        .offset:         8
        .size:           8
        .value_kind:     global_buffer
      - .address_space:  global
        .offset:         16
        .size:           8
        .value_kind:     global_buffer
      - .address_space:  global
        .offset:         24
        .size:           8
        .value_kind:     global_buffer
      - .address_space:  global
        .offset:         32
        .size:           8
        .value_kind:     global_buffer
      - .address_space:  global
        .offset:         40
        .size:           8
        .value_kind:     global_buffer
      - .address_space:  global
        .offset:         48
        .size:           8
        .value_kind:     global_buffer
      - .address_space:  global
        .offset:         56
        .size:           8
        .value_kind:     global_buffer
      - .offset:         64
        .size:           4
        .value_kind:     by_value
      - .offset:         68
        .size:           4
        .value_kind:     by_value
      - .offset:         72
        .size:           4
        .value_kind:     by_value
      - .offset:         76
        .size:           4
        .value_kind:     by_value
      - .offset:         80
        .size:           4
        .value_kind:     by_value
      - .offset:         84
        .size:           4
        .value_kind:     by_value
      - .offset:         88
        .size:           4
        .value_kind:     by_value
      - .offset:         92
        .size:           12
        .value_kind:     by_value
      - .offset:         104
        .size:           4
        .value_kind:     by_value
      - .offset:         108
        .size:           4
        .value_kind:     by_value
      - .offset:         112
        .size:           4
        .value_kind:     by_value
      - .offset:         116
        .size:           4
        .value_kind:     by_value
      - .offset:         120
        .size:           4
        .value_kind:     by_value
      - .offset:         124
        .size:           4
        .value_kind:     by_value
      - .offset:         128
        .size:           4
        .value_kind:     by_value
      - .offset:         132
        .size:           4
        .value_kind:     by_value
      - .offset:         136
        .size:           4
        .value_kind:     by_value
      - .offset:         140
        .size:           4
        .value_kind:     by_value
      - .offset:         144
        .size:           4
        .value_kind:     by_value
      - .offset:         152
        .size:           8
        .value_kind:     by_value
      - .offset:         160
        .size:           4
        .value_kind:     by_value
      - .offset:         164
        .size:           4
        .value_kind:     by_value
      - .offset:         168
        .size:           8
        .value_kind:     by_value
      - .offset:         176
        .size:           4
        .value_kind:     by_value
      - .offset:         180
        .size:           4
        .value_kind:     by_value
      - .offset:         184
        .size:           4
        .value_kind:     by_value
      - .offset:         188
        .size:           4
        .value_kind:     by_value
      - .offset:         192
        .size:           4
        .value_kind:     by_value
      - .offset:         200
        .size:           8
        .value_kind:     by_value
      - .offset:         208
        .size:           4
        .value_kind:     hidden_block_count_x
      - .offset:         212
        .size:           4
        .value_kind:     hidden_block_count_y
      - .offset:         216
        .size:           4
        .value_kind:     hidden_block_count_z
      - .offset:         220
        .size:           2
        .value_kind:     hidden_group_size_x
      - .offset:         222
        .size:           2
        .value_kind:     hidden_group_size_y
      - .offset:         224
        .size:           2
        .value_kind:     hidden_group_size_z
      - .offset:         226
        .size:           2
        .value_kind:     hidden_remainder_x
      - .offset:         228
        .size:           2
        .value_kind:     hidden_remainder_y
      - .offset:         230
        .size:           2
        .value_kind:     hidden_remainder_z
      - .offset:         248
        .size:           8
        .value_kind:     hidden_global_offset_x
      - .offset:         256
        .size:           8
        .value_kind:     hidden_global_offset_y
      - .offset:         264
        .size:           8
        .value_kind:     hidden_global_offset_z
      - .offset:         272
        .size:           2
        .value_kind:     hidden_grid_dims
      - .offset:         288
        .size:           8
        .value_kind:     hidden_hostcall_buffer
    .group_segment_fixed_size: 0
    .kernarg_segment_align: 8
    .kernarg_segment_size: 464
    .language:       OpenCL C
    .language_version:
      - 2
      - 0
    .max_flat_workgroup_size: 32
    .name:           _ZL18flash_attn_ext_f16ILi112ELi112ELi8ELi1ELb1ELb0EEvPKcS1_S1_S1_S1_PKiPfP15HIP_vector_typeIfLj2EEffffjfiS5_IjLj3EEiiiiiiiiiiiliiliiiiil
    .private_segment_fixed_size: 16
    .sgpr_count:     36
    .sgpr_spill_count: 0
    .symbol:         _ZL18flash_attn_ext_f16ILi112ELi112ELi8ELi1ELb1ELb0EEvPKcS1_S1_S1_S1_PKiPfP15HIP_vector_typeIfLj2EEffffjfiS5_IjLj3EEiiiiiiiiiiiliiliiiiil.kd
    .uniform_work_group_size: 1
    .uses_dynamic_stack: false
    .vgpr_count:     40
    .vgpr_spill_count: 0
    .wavefront_size: 32
    .workgroup_processor_mode: 1
  - .args:
      - .address_space:  global
        .offset:         0
        .size:           8
        .value_kind:     global_buffer
      - .address_space:  global
        .offset:         8
        .size:           8
        .value_kind:     global_buffer
      - .offset:         16
        .size:           4
        .value_kind:     by_value
      - .offset:         20
        .size:           4
        .value_kind:     by_value
      - .offset:         24
        .size:           4
        .value_kind:     by_value
      - .offset:         28
        .size:           4
        .value_kind:     by_value
      - .offset:         32
        .size:           4
        .value_kind:     by_value
      - .offset:         36
        .size:           4
        .value_kind:     by_value
      - .offset:         40
        .size:           12
        .value_kind:     by_value
      - .offset:         52
        .size:           12
        .value_kind:     by_value
      - .offset:         64
        .size:           12
        .value_kind:     by_value
    .group_segment_fixed_size: 0
    .kernarg_segment_align: 8
    .kernarg_segment_size: 76
    .language:       OpenCL C
    .language_version:
      - 2
      - 0
    .max_flat_workgroup_size: 112
    .name:           _ZL33flash_attn_stream_k_fixup_uniformILi112ELi8ELi1EEvPfPK15HIP_vector_typeIfLj2EEiiiiiiS1_IjLj3EES5_S5_
    .private_segment_fixed_size: 0
    .sgpr_count:     26
    .sgpr_spill_count: 0
    .symbol:         _ZL33flash_attn_stream_k_fixup_uniformILi112ELi8ELi1EEvPfPK15HIP_vector_typeIfLj2EEiiiiiiS1_IjLj3EES5_S5_.kd
    .uniform_work_group_size: 1
    .uses_dynamic_stack: false
    .vgpr_count:     15
    .vgpr_spill_count: 0
    .wavefront_size: 32
    .workgroup_processor_mode: 1
  - .args:
      - .address_space:  global
        .offset:         0
        .size:           8
        .value_kind:     global_buffer
      - .address_space:  global
        .offset:         8
        .size:           8
        .value_kind:     global_buffer
      - .offset:         16
        .size:           4
        .value_kind:     by_value
      - .offset:         20
        .size:           4
        .value_kind:     by_value
      - .offset:         24
        .size:           4
        .value_kind:     by_value
      - .offset:         28
        .size:           4
        .value_kind:     by_value
      - .offset:         32
        .size:           12
        .value_kind:     by_value
      - .offset:         44
        .size:           12
        .value_kind:     by_value
      - .offset:         56
        .size:           12
        .value_kind:     by_value
      - .offset:         68
        .size:           12
        .value_kind:     by_value
      - .offset:         80
        .size:           4
        .value_kind:     hidden_block_count_x
      - .offset:         84
        .size:           4
        .value_kind:     hidden_block_count_y
      - .offset:         88
        .size:           4
        .value_kind:     hidden_block_count_z
      - .offset:         92
        .size:           2
        .value_kind:     hidden_group_size_x
      - .offset:         94
        .size:           2
        .value_kind:     hidden_group_size_y
      - .offset:         96
        .size:           2
        .value_kind:     hidden_group_size_z
      - .offset:         98
        .size:           2
        .value_kind:     hidden_remainder_x
      - .offset:         100
        .size:           2
        .value_kind:     hidden_remainder_y
      - .offset:         102
        .size:           2
        .value_kind:     hidden_remainder_z
      - .offset:         120
        .size:           8
        .value_kind:     hidden_global_offset_x
      - .offset:         128
        .size:           8
        .value_kind:     hidden_global_offset_y
      - .offset:         136
        .size:           8
        .value_kind:     hidden_global_offset_z
      - .offset:         144
        .size:           2
        .value_kind:     hidden_grid_dims
    .group_segment_fixed_size: 0
    .kernarg_segment_align: 8
    .kernarg_segment_size: 336
    .language:       OpenCL C
    .language_version:
      - 2
      - 0
    .max_flat_workgroup_size: 112
    .name:           _ZL33flash_attn_stream_k_fixup_generalILi112ELi8ELi1EEvPfPK15HIP_vector_typeIfLj2EEiiiiS1_IjLj3EES5_S5_S5_
    .private_segment_fixed_size: 0
    .sgpr_count:     33
    .sgpr_spill_count: 0
    .symbol:         _ZL33flash_attn_stream_k_fixup_generalILi112ELi8ELi1EEvPfPK15HIP_vector_typeIfLj2EEiiiiS1_IjLj3EES5_S5_S5_.kd
    .uniform_work_group_size: 1
    .uses_dynamic_stack: false
    .vgpr_count:     17
    .vgpr_spill_count: 0
    .wavefront_size: 32
    .workgroup_processor_mode: 1
  - .args:
      - .address_space:  global
        .offset:         0
        .size:           8
        .value_kind:     global_buffer
      - .address_space:  global
        .offset:         8
        .size:           8
        .value_kind:     global_buffer
      - .address_space:  global
        .offset:         16
        .size:           8
        .value_kind:     global_buffer
      - .offset:         24
        .size:           4
        .value_kind:     by_value
      - .offset:         32
        .size:           4
        .value_kind:     hidden_block_count_x
      - .offset:         36
        .size:           4
        .value_kind:     hidden_block_count_y
      - .offset:         40
        .size:           4
        .value_kind:     hidden_block_count_z
      - .offset:         44
        .size:           2
        .value_kind:     hidden_group_size_x
      - .offset:         46
        .size:           2
        .value_kind:     hidden_group_size_y
      - .offset:         48
        .size:           2
        .value_kind:     hidden_group_size_z
      - .offset:         50
        .size:           2
        .value_kind:     hidden_remainder_x
      - .offset:         52
        .size:           2
        .value_kind:     hidden_remainder_y
      - .offset:         54
        .size:           2
        .value_kind:     hidden_remainder_z
      - .offset:         72
        .size:           8
        .value_kind:     hidden_global_offset_x
      - .offset:         80
        .size:           8
        .value_kind:     hidden_global_offset_y
      - .offset:         88
        .size:           8
        .value_kind:     hidden_global_offset_z
      - .offset:         96
        .size:           2
        .value_kind:     hidden_grid_dims
      - .offset:         152
        .size:           4
        .value_kind:     hidden_dynamic_lds_size
    .group_segment_fixed_size: 0
    .kernarg_segment_align: 8
    .kernarg_segment_size: 288
    .language:       OpenCL C
    .language_version:
      - 2
      - 0
    .max_flat_workgroup_size: 112
    .name:           _ZL26flash_attn_combine_resultsILi112EEvPKfPK15HIP_vector_typeIfLj2EEPfi
    .private_segment_fixed_size: 0
    .sgpr_count:     21
    .sgpr_spill_count: 0
    .symbol:         _ZL26flash_attn_combine_resultsILi112EEvPKfPK15HIP_vector_typeIfLj2EEPfi.kd
    .uniform_work_group_size: 1
    .uses_dynamic_stack: false
    .vgpr_count:     52
    .vgpr_spill_count: 0
    .wavefront_size: 32
    .workgroup_processor_mode: 1
  - .args:
      - .address_space:  global
        .offset:         0
        .size:           8
        .value_kind:     global_buffer
      - .address_space:  global
        .offset:         8
        .size:           8
        .value_kind:     global_buffer
      - .address_space:  global
        .offset:         16
        .size:           8
        .value_kind:     global_buffer
      - .address_space:  global
        .offset:         24
        .size:           8
        .value_kind:     global_buffer
      - .address_space:  global
        .offset:         32
        .size:           8
        .value_kind:     global_buffer
      - .address_space:  global
        .offset:         40
        .size:           8
        .value_kind:     global_buffer
      - .address_space:  global
        .offset:         48
        .size:           8
        .value_kind:     global_buffer
      - .address_space:  global
        .offset:         56
        .size:           8
        .value_kind:     global_buffer
      - .offset:         64
        .size:           4
        .value_kind:     by_value
      - .offset:         68
        .size:           4
        .value_kind:     by_value
      - .offset:         72
        .size:           4
        .value_kind:     by_value
      - .offset:         76
        .size:           4
        .value_kind:     by_value
      - .offset:         80
        .size:           4
        .value_kind:     by_value
      - .offset:         84
        .size:           4
        .value_kind:     by_value
      - .offset:         88
        .size:           4
        .value_kind:     by_value
      - .offset:         92
        .size:           12
        .value_kind:     by_value
      - .offset:         104
        .size:           4
        .value_kind:     by_value
      - .offset:         108
        .size:           4
        .value_kind:     by_value
      - .offset:         112
        .size:           4
        .value_kind:     by_value
      - .offset:         116
        .size:           4
        .value_kind:     by_value
      - .offset:         120
        .size:           4
        .value_kind:     by_value
      - .offset:         124
        .size:           4
        .value_kind:     by_value
      - .offset:         128
        .size:           4
        .value_kind:     by_value
      - .offset:         132
        .size:           4
        .value_kind:     by_value
      - .offset:         136
        .size:           4
        .value_kind:     by_value
      - .offset:         140
        .size:           4
        .value_kind:     by_value
      - .offset:         144
        .size:           4
        .value_kind:     by_value
      - .offset:         152
        .size:           8
        .value_kind:     by_value
      - .offset:         160
        .size:           4
        .value_kind:     by_value
      - .offset:         164
        .size:           4
        .value_kind:     by_value
      - .offset:         168
        .size:           8
        .value_kind:     by_value
      - .offset:         176
        .size:           4
        .value_kind:     by_value
      - .offset:         180
        .size:           4
        .value_kind:     by_value
      - .offset:         184
        .size:           4
        .value_kind:     by_value
      - .offset:         188
        .size:           4
        .value_kind:     by_value
      - .offset:         192
        .size:           4
        .value_kind:     by_value
      - .offset:         200
        .size:           8
        .value_kind:     by_value
      - .offset:         208
        .size:           4
        .value_kind:     hidden_block_count_x
      - .offset:         212
        .size:           4
        .value_kind:     hidden_block_count_y
      - .offset:         216
        .size:           4
        .value_kind:     hidden_block_count_z
      - .offset:         220
        .size:           2
        .value_kind:     hidden_group_size_x
      - .offset:         222
        .size:           2
        .value_kind:     hidden_group_size_y
      - .offset:         224
        .size:           2
        .value_kind:     hidden_group_size_z
      - .offset:         226
        .size:           2
        .value_kind:     hidden_remainder_x
      - .offset:         228
        .size:           2
        .value_kind:     hidden_remainder_y
      - .offset:         230
        .size:           2
        .value_kind:     hidden_remainder_z
      - .offset:         248
        .size:           8
        .value_kind:     hidden_global_offset_x
      - .offset:         256
        .size:           8
        .value_kind:     hidden_global_offset_y
      - .offset:         264
        .size:           8
        .value_kind:     hidden_global_offset_z
      - .offset:         272
        .size:           2
        .value_kind:     hidden_grid_dims
      - .offset:         288
        .size:           8
        .value_kind:     hidden_hostcall_buffer
    .group_segment_fixed_size: 0
    .kernarg_segment_align: 8
    .kernarg_segment_size: 464
    .language:       OpenCL C
    .language_version:
      - 2
      - 0
    .max_flat_workgroup_size: 32
    .name:           _ZL18flash_attn_ext_f16ILi128ELi128ELi8ELi1ELb0ELb0EEvPKcS1_S1_S1_S1_PKiPfP15HIP_vector_typeIfLj2EEffffjfiS5_IjLj3EEiiiiiiiiiiiliiliiiiil
    .private_segment_fixed_size: 16
    .sgpr_count:     36
    .sgpr_spill_count: 0
    .symbol:         _ZL18flash_attn_ext_f16ILi128ELi128ELi8ELi1ELb0ELb0EEvPKcS1_S1_S1_S1_PKiPfP15HIP_vector_typeIfLj2EEffffjfiS5_IjLj3EEiiiiiiiiiiiliiliiiiil.kd
    .uniform_work_group_size: 1
    .uses_dynamic_stack: false
    .vgpr_count:     40
    .vgpr_spill_count: 0
    .wavefront_size: 32
    .workgroup_processor_mode: 1
  - .args:
      - .address_space:  global
        .offset:         0
        .size:           8
        .value_kind:     global_buffer
      - .address_space:  global
        .offset:         8
        .size:           8
        .value_kind:     global_buffer
      - .address_space:  global
        .offset:         16
        .size:           8
        .value_kind:     global_buffer
      - .address_space:  global
        .offset:         24
        .size:           8
        .value_kind:     global_buffer
      - .address_space:  global
        .offset:         32
        .size:           8
        .value_kind:     global_buffer
      - .address_space:  global
        .offset:         40
        .size:           8
        .value_kind:     global_buffer
      - .address_space:  global
        .offset:         48
        .size:           8
        .value_kind:     global_buffer
      - .address_space:  global
        .offset:         56
        .size:           8
        .value_kind:     global_buffer
      - .offset:         64
        .size:           4
        .value_kind:     by_value
      - .offset:         68
        .size:           4
        .value_kind:     by_value
      - .offset:         72
        .size:           4
        .value_kind:     by_value
      - .offset:         76
        .size:           4
        .value_kind:     by_value
      - .offset:         80
        .size:           4
        .value_kind:     by_value
      - .offset:         84
        .size:           4
        .value_kind:     by_value
      - .offset:         88
        .size:           4
        .value_kind:     by_value
      - .offset:         92
        .size:           12
        .value_kind:     by_value
      - .offset:         104
        .size:           4
        .value_kind:     by_value
      - .offset:         108
        .size:           4
        .value_kind:     by_value
      - .offset:         112
        .size:           4
        .value_kind:     by_value
      - .offset:         116
        .size:           4
        .value_kind:     by_value
      - .offset:         120
        .size:           4
        .value_kind:     by_value
      - .offset:         124
        .size:           4
        .value_kind:     by_value
      - .offset:         128
        .size:           4
        .value_kind:     by_value
      - .offset:         132
        .size:           4
        .value_kind:     by_value
      - .offset:         136
        .size:           4
        .value_kind:     by_value
      - .offset:         140
        .size:           4
        .value_kind:     by_value
      - .offset:         144
        .size:           4
        .value_kind:     by_value
      - .offset:         152
        .size:           8
        .value_kind:     by_value
      - .offset:         160
        .size:           4
        .value_kind:     by_value
      - .offset:         164
        .size:           4
        .value_kind:     by_value
      - .offset:         168
        .size:           8
        .value_kind:     by_value
      - .offset:         176
        .size:           4
        .value_kind:     by_value
      - .offset:         180
        .size:           4
        .value_kind:     by_value
      - .offset:         184
        .size:           4
        .value_kind:     by_value
      - .offset:         188
        .size:           4
        .value_kind:     by_value
      - .offset:         192
        .size:           4
        .value_kind:     by_value
      - .offset:         200
        .size:           8
        .value_kind:     by_value
      - .offset:         208
        .size:           4
        .value_kind:     hidden_block_count_x
      - .offset:         212
        .size:           4
        .value_kind:     hidden_block_count_y
      - .offset:         216
        .size:           4
        .value_kind:     hidden_block_count_z
      - .offset:         220
        .size:           2
        .value_kind:     hidden_group_size_x
      - .offset:         222
        .size:           2
        .value_kind:     hidden_group_size_y
      - .offset:         224
        .size:           2
        .value_kind:     hidden_group_size_z
      - .offset:         226
        .size:           2
        .value_kind:     hidden_remainder_x
      - .offset:         228
        .size:           2
        .value_kind:     hidden_remainder_y
      - .offset:         230
        .size:           2
        .value_kind:     hidden_remainder_z
      - .offset:         248
        .size:           8
        .value_kind:     hidden_global_offset_x
      - .offset:         256
        .size:           8
        .value_kind:     hidden_global_offset_y
      - .offset:         264
        .size:           8
        .value_kind:     hidden_global_offset_z
      - .offset:         272
        .size:           2
        .value_kind:     hidden_grid_dims
      - .offset:         288
        .size:           8
        .value_kind:     hidden_hostcall_buffer
    .group_segment_fixed_size: 0
    .kernarg_segment_align: 8
    .kernarg_segment_size: 464
    .language:       OpenCL C
    .language_version:
      - 2
      - 0
    .max_flat_workgroup_size: 32
    .name:           _ZL18flash_attn_ext_f16ILi128ELi128ELi8ELi1ELb1ELb0EEvPKcS1_S1_S1_S1_PKiPfP15HIP_vector_typeIfLj2EEffffjfiS5_IjLj3EEiiiiiiiiiiiliiliiiiil
    .private_segment_fixed_size: 16
    .sgpr_count:     36
    .sgpr_spill_count: 0
    .symbol:         _ZL18flash_attn_ext_f16ILi128ELi128ELi8ELi1ELb1ELb0EEvPKcS1_S1_S1_S1_PKiPfP15HIP_vector_typeIfLj2EEffffjfiS5_IjLj3EEiiiiiiiiiiiliiliiiiil.kd
    .uniform_work_group_size: 1
    .uses_dynamic_stack: false
    .vgpr_count:     40
    .vgpr_spill_count: 0
    .wavefront_size: 32
    .workgroup_processor_mode: 1
  - .args:
      - .address_space:  global
        .offset:         0
        .size:           8
        .value_kind:     global_buffer
      - .address_space:  global
        .offset:         8
        .size:           8
        .value_kind:     global_buffer
      - .offset:         16
        .size:           4
        .value_kind:     by_value
      - .offset:         20
        .size:           4
        .value_kind:     by_value
      - .offset:         24
        .size:           4
        .value_kind:     by_value
      - .offset:         28
        .size:           4
        .value_kind:     by_value
      - .offset:         32
        .size:           4
        .value_kind:     by_value
      - .offset:         36
        .size:           4
        .value_kind:     by_value
      - .offset:         40
        .size:           12
        .value_kind:     by_value
      - .offset:         52
        .size:           12
        .value_kind:     by_value
      - .offset:         64
        .size:           12
        .value_kind:     by_value
    .group_segment_fixed_size: 0
    .kernarg_segment_align: 8
    .kernarg_segment_size: 76
    .language:       OpenCL C
    .language_version:
      - 2
      - 0
    .max_flat_workgroup_size: 128
    .name:           _ZL33flash_attn_stream_k_fixup_uniformILi128ELi8ELi1EEvPfPK15HIP_vector_typeIfLj2EEiiiiiiS1_IjLj3EES5_S5_
    .private_segment_fixed_size: 0
    .sgpr_count:     26
    .sgpr_spill_count: 0
    .symbol:         _ZL33flash_attn_stream_k_fixup_uniformILi128ELi8ELi1EEvPfPK15HIP_vector_typeIfLj2EEiiiiiiS1_IjLj3EES5_S5_.kd
    .uniform_work_group_size: 1
    .uses_dynamic_stack: false
    .vgpr_count:     15
    .vgpr_spill_count: 0
    .wavefront_size: 32
    .workgroup_processor_mode: 1
  - .args:
      - .address_space:  global
        .offset:         0
        .size:           8
        .value_kind:     global_buffer
      - .address_space:  global
        .offset:         8
        .size:           8
        .value_kind:     global_buffer
      - .offset:         16
        .size:           4
        .value_kind:     by_value
      - .offset:         20
        .size:           4
        .value_kind:     by_value
      - .offset:         24
        .size:           4
        .value_kind:     by_value
      - .offset:         28
        .size:           4
        .value_kind:     by_value
      - .offset:         32
        .size:           12
        .value_kind:     by_value
      - .offset:         44
        .size:           12
        .value_kind:     by_value
      - .offset:         56
        .size:           12
        .value_kind:     by_value
      - .offset:         68
        .size:           12
        .value_kind:     by_value
      - .offset:         80
        .size:           4
        .value_kind:     hidden_block_count_x
      - .offset:         84
        .size:           4
        .value_kind:     hidden_block_count_y
      - .offset:         88
        .size:           4
        .value_kind:     hidden_block_count_z
      - .offset:         92
        .size:           2
        .value_kind:     hidden_group_size_x
      - .offset:         94
        .size:           2
        .value_kind:     hidden_group_size_y
      - .offset:         96
        .size:           2
        .value_kind:     hidden_group_size_z
      - .offset:         98
        .size:           2
        .value_kind:     hidden_remainder_x
      - .offset:         100
        .size:           2
        .value_kind:     hidden_remainder_y
      - .offset:         102
        .size:           2
        .value_kind:     hidden_remainder_z
      - .offset:         120
        .size:           8
        .value_kind:     hidden_global_offset_x
      - .offset:         128
        .size:           8
        .value_kind:     hidden_global_offset_y
      - .offset:         136
        .size:           8
        .value_kind:     hidden_global_offset_z
      - .offset:         144
        .size:           2
        .value_kind:     hidden_grid_dims
    .group_segment_fixed_size: 0
    .kernarg_segment_align: 8
    .kernarg_segment_size: 336
    .language:       OpenCL C
    .language_version:
      - 2
      - 0
    .max_flat_workgroup_size: 128
    .name:           _ZL33flash_attn_stream_k_fixup_generalILi128ELi8ELi1EEvPfPK15HIP_vector_typeIfLj2EEiiiiS1_IjLj3EES5_S5_S5_
    .private_segment_fixed_size: 0
    .sgpr_count:     33
    .sgpr_spill_count: 0
    .symbol:         _ZL33flash_attn_stream_k_fixup_generalILi128ELi8ELi1EEvPfPK15HIP_vector_typeIfLj2EEiiiiS1_IjLj3EES5_S5_S5_.kd
    .uniform_work_group_size: 1
    .uses_dynamic_stack: false
    .vgpr_count:     17
    .vgpr_spill_count: 0
    .wavefront_size: 32
    .workgroup_processor_mode: 1
  - .args:
      - .address_space:  global
        .offset:         0
        .size:           8
        .value_kind:     global_buffer
      - .address_space:  global
        .offset:         8
        .size:           8
        .value_kind:     global_buffer
      - .address_space:  global
        .offset:         16
        .size:           8
        .value_kind:     global_buffer
      - .offset:         24
        .size:           4
        .value_kind:     by_value
      - .offset:         32
        .size:           4
        .value_kind:     hidden_block_count_x
      - .offset:         36
        .size:           4
        .value_kind:     hidden_block_count_y
      - .offset:         40
        .size:           4
        .value_kind:     hidden_block_count_z
      - .offset:         44
        .size:           2
        .value_kind:     hidden_group_size_x
      - .offset:         46
        .size:           2
        .value_kind:     hidden_group_size_y
      - .offset:         48
        .size:           2
        .value_kind:     hidden_group_size_z
      - .offset:         50
        .size:           2
        .value_kind:     hidden_remainder_x
      - .offset:         52
        .size:           2
        .value_kind:     hidden_remainder_y
      - .offset:         54
        .size:           2
        .value_kind:     hidden_remainder_z
      - .offset:         72
        .size:           8
        .value_kind:     hidden_global_offset_x
      - .offset:         80
        .size:           8
        .value_kind:     hidden_global_offset_y
      - .offset:         88
        .size:           8
        .value_kind:     hidden_global_offset_z
      - .offset:         96
        .size:           2
        .value_kind:     hidden_grid_dims
      - .offset:         152
        .size:           4
        .value_kind:     hidden_dynamic_lds_size
    .group_segment_fixed_size: 0
    .kernarg_segment_align: 8
    .kernarg_segment_size: 288
    .language:       OpenCL C
    .language_version:
      - 2
      - 0
    .max_flat_workgroup_size: 128
    .name:           _ZL26flash_attn_combine_resultsILi128EEvPKfPK15HIP_vector_typeIfLj2EEPfi
    .private_segment_fixed_size: 0
    .sgpr_count:     20
    .sgpr_spill_count: 0
    .symbol:         _ZL26flash_attn_combine_resultsILi128EEvPKfPK15HIP_vector_typeIfLj2EEPfi.kd
    .uniform_work_group_size: 1
    .uses_dynamic_stack: false
    .vgpr_count:     52
    .vgpr_spill_count: 0
    .wavefront_size: 32
    .workgroup_processor_mode: 1
  - .args:
      - .address_space:  global
        .offset:         0
        .size:           8
        .value_kind:     global_buffer
      - .address_space:  global
        .offset:         8
        .size:           8
        .value_kind:     global_buffer
      - .address_space:  global
        .offset:         16
        .size:           8
        .value_kind:     global_buffer
      - .address_space:  global
        .offset:         24
        .size:           8
        .value_kind:     global_buffer
      - .address_space:  global
        .offset:         32
        .size:           8
        .value_kind:     global_buffer
      - .address_space:  global
        .offset:         40
        .size:           8
        .value_kind:     global_buffer
      - .address_space:  global
        .offset:         48
        .size:           8
        .value_kind:     global_buffer
      - .address_space:  global
        .offset:         56
        .size:           8
        .value_kind:     global_buffer
      - .offset:         64
        .size:           4
        .value_kind:     by_value
      - .offset:         68
        .size:           4
        .value_kind:     by_value
      - .offset:         72
        .size:           4
        .value_kind:     by_value
      - .offset:         76
        .size:           4
        .value_kind:     by_value
      - .offset:         80
        .size:           4
        .value_kind:     by_value
      - .offset:         84
        .size:           4
        .value_kind:     by_value
      - .offset:         88
        .size:           4
        .value_kind:     by_value
      - .offset:         92
        .size:           12
        .value_kind:     by_value
      - .offset:         104
        .size:           4
        .value_kind:     by_value
      - .offset:         108
        .size:           4
        .value_kind:     by_value
      - .offset:         112
        .size:           4
        .value_kind:     by_value
      - .offset:         116
        .size:           4
        .value_kind:     by_value
      - .offset:         120
        .size:           4
        .value_kind:     by_value
      - .offset:         124
        .size:           4
        .value_kind:     by_value
      - .offset:         128
        .size:           4
        .value_kind:     by_value
      - .offset:         132
        .size:           4
        .value_kind:     by_value
      - .offset:         136
        .size:           4
        .value_kind:     by_value
      - .offset:         140
        .size:           4
        .value_kind:     by_value
      - .offset:         144
        .size:           4
        .value_kind:     by_value
      - .offset:         152
        .size:           8
        .value_kind:     by_value
      - .offset:         160
        .size:           4
        .value_kind:     by_value
      - .offset:         164
        .size:           4
        .value_kind:     by_value
      - .offset:         168
        .size:           8
        .value_kind:     by_value
      - .offset:         176
        .size:           4
        .value_kind:     by_value
      - .offset:         180
        .size:           4
        .value_kind:     by_value
      - .offset:         184
        .size:           4
        .value_kind:     by_value
      - .offset:         188
        .size:           4
        .value_kind:     by_value
      - .offset:         192
        .size:           4
        .value_kind:     by_value
      - .offset:         200
        .size:           8
        .value_kind:     by_value
      - .offset:         208
        .size:           4
        .value_kind:     hidden_block_count_x
      - .offset:         212
        .size:           4
        .value_kind:     hidden_block_count_y
      - .offset:         216
        .size:           4
        .value_kind:     hidden_block_count_z
      - .offset:         220
        .size:           2
        .value_kind:     hidden_group_size_x
      - .offset:         222
        .size:           2
        .value_kind:     hidden_group_size_y
      - .offset:         224
        .size:           2
        .value_kind:     hidden_group_size_z
      - .offset:         226
        .size:           2
        .value_kind:     hidden_remainder_x
      - .offset:         228
        .size:           2
        .value_kind:     hidden_remainder_y
      - .offset:         230
        .size:           2
        .value_kind:     hidden_remainder_z
      - .offset:         248
        .size:           8
        .value_kind:     hidden_global_offset_x
      - .offset:         256
        .size:           8
        .value_kind:     hidden_global_offset_y
      - .offset:         264
        .size:           8
        .value_kind:     hidden_global_offset_z
      - .offset:         272
        .size:           2
        .value_kind:     hidden_grid_dims
      - .offset:         288
        .size:           8
        .value_kind:     hidden_hostcall_buffer
    .group_segment_fixed_size: 0
    .kernarg_segment_align: 8
    .kernarg_segment_size: 464
    .language:       OpenCL C
    .language_version:
      - 2
      - 0
    .max_flat_workgroup_size: 32
    .name:           _ZL18flash_attn_ext_f16ILi256ELi256ELi8ELi1ELb0ELb0EEvPKcS1_S1_S1_S1_PKiPfP15HIP_vector_typeIfLj2EEffffjfiS5_IjLj3EEiiiiiiiiiiiliiliiiiil
    .private_segment_fixed_size: 16
    .sgpr_count:     36
    .sgpr_spill_count: 0
    .symbol:         _ZL18flash_attn_ext_f16ILi256ELi256ELi8ELi1ELb0ELb0EEvPKcS1_S1_S1_S1_PKiPfP15HIP_vector_typeIfLj2EEffffjfiS5_IjLj3EEiiiiiiiiiiiliiliiiiil.kd
    .uniform_work_group_size: 1
    .uses_dynamic_stack: false
    .vgpr_count:     40
    .vgpr_spill_count: 0
    .wavefront_size: 32
    .workgroup_processor_mode: 1
  - .args:
      - .address_space:  global
        .offset:         0
        .size:           8
        .value_kind:     global_buffer
      - .address_space:  global
        .offset:         8
        .size:           8
        .value_kind:     global_buffer
      - .address_space:  global
        .offset:         16
        .size:           8
        .value_kind:     global_buffer
      - .address_space:  global
        .offset:         24
        .size:           8
        .value_kind:     global_buffer
      - .address_space:  global
        .offset:         32
        .size:           8
        .value_kind:     global_buffer
      - .address_space:  global
        .offset:         40
        .size:           8
        .value_kind:     global_buffer
      - .address_space:  global
        .offset:         48
        .size:           8
        .value_kind:     global_buffer
      - .address_space:  global
        .offset:         56
        .size:           8
        .value_kind:     global_buffer
      - .offset:         64
        .size:           4
        .value_kind:     by_value
      - .offset:         68
        .size:           4
        .value_kind:     by_value
      - .offset:         72
        .size:           4
        .value_kind:     by_value
      - .offset:         76
        .size:           4
        .value_kind:     by_value
      - .offset:         80
        .size:           4
        .value_kind:     by_value
      - .offset:         84
        .size:           4
        .value_kind:     by_value
      - .offset:         88
        .size:           4
        .value_kind:     by_value
      - .offset:         92
        .size:           12
        .value_kind:     by_value
      - .offset:         104
        .size:           4
        .value_kind:     by_value
      - .offset:         108
        .size:           4
        .value_kind:     by_value
      - .offset:         112
        .size:           4
        .value_kind:     by_value
      - .offset:         116
        .size:           4
        .value_kind:     by_value
      - .offset:         120
        .size:           4
        .value_kind:     by_value
      - .offset:         124
        .size:           4
        .value_kind:     by_value
      - .offset:         128
        .size:           4
        .value_kind:     by_value
      - .offset:         132
        .size:           4
        .value_kind:     by_value
      - .offset:         136
        .size:           4
        .value_kind:     by_value
      - .offset:         140
        .size:           4
        .value_kind:     by_value
      - .offset:         144
        .size:           4
        .value_kind:     by_value
      - .offset:         152
        .size:           8
        .value_kind:     by_value
      - .offset:         160
        .size:           4
        .value_kind:     by_value
      - .offset:         164
        .size:           4
        .value_kind:     by_value
      - .offset:         168
        .size:           8
        .value_kind:     by_value
      - .offset:         176
        .size:           4
        .value_kind:     by_value
      - .offset:         180
        .size:           4
        .value_kind:     by_value
      - .offset:         184
        .size:           4
        .value_kind:     by_value
      - .offset:         188
        .size:           4
        .value_kind:     by_value
      - .offset:         192
        .size:           4
        .value_kind:     by_value
      - .offset:         200
        .size:           8
        .value_kind:     by_value
      - .offset:         208
        .size:           4
        .value_kind:     hidden_block_count_x
      - .offset:         212
        .size:           4
        .value_kind:     hidden_block_count_y
      - .offset:         216
        .size:           4
        .value_kind:     hidden_block_count_z
      - .offset:         220
        .size:           2
        .value_kind:     hidden_group_size_x
      - .offset:         222
        .size:           2
        .value_kind:     hidden_group_size_y
      - .offset:         224
        .size:           2
        .value_kind:     hidden_group_size_z
      - .offset:         226
        .size:           2
        .value_kind:     hidden_remainder_x
      - .offset:         228
        .size:           2
        .value_kind:     hidden_remainder_y
      - .offset:         230
        .size:           2
        .value_kind:     hidden_remainder_z
      - .offset:         248
        .size:           8
        .value_kind:     hidden_global_offset_x
      - .offset:         256
        .size:           8
        .value_kind:     hidden_global_offset_y
      - .offset:         264
        .size:           8
        .value_kind:     hidden_global_offset_z
      - .offset:         272
        .size:           2
        .value_kind:     hidden_grid_dims
      - .offset:         288
        .size:           8
        .value_kind:     hidden_hostcall_buffer
    .group_segment_fixed_size: 0
    .kernarg_segment_align: 8
    .kernarg_segment_size: 464
    .language:       OpenCL C
    .language_version:
      - 2
      - 0
    .max_flat_workgroup_size: 32
    .name:           _ZL18flash_attn_ext_f16ILi256ELi256ELi8ELi1ELb1ELb0EEvPKcS1_S1_S1_S1_PKiPfP15HIP_vector_typeIfLj2EEffffjfiS5_IjLj3EEiiiiiiiiiiiliiliiiiil
    .private_segment_fixed_size: 16
    .sgpr_count:     36
    .sgpr_spill_count: 0
    .symbol:         _ZL18flash_attn_ext_f16ILi256ELi256ELi8ELi1ELb1ELb0EEvPKcS1_S1_S1_S1_PKiPfP15HIP_vector_typeIfLj2EEffffjfiS5_IjLj3EEiiiiiiiiiiiliiliiiiil.kd
    .uniform_work_group_size: 1
    .uses_dynamic_stack: false
    .vgpr_count:     40
    .vgpr_spill_count: 0
    .wavefront_size: 32
    .workgroup_processor_mode: 1
  - .args:
      - .address_space:  global
        .offset:         0
        .size:           8
        .value_kind:     global_buffer
      - .address_space:  global
        .offset:         8
        .size:           8
        .value_kind:     global_buffer
      - .offset:         16
        .size:           4
        .value_kind:     by_value
      - .offset:         20
        .size:           4
        .value_kind:     by_value
      - .offset:         24
        .size:           4
        .value_kind:     by_value
      - .offset:         28
        .size:           4
        .value_kind:     by_value
      - .offset:         32
        .size:           4
        .value_kind:     by_value
      - .offset:         36
        .size:           4
        .value_kind:     by_value
      - .offset:         40
        .size:           12
        .value_kind:     by_value
      - .offset:         52
        .size:           12
        .value_kind:     by_value
      - .offset:         64
        .size:           12
        .value_kind:     by_value
    .group_segment_fixed_size: 0
    .kernarg_segment_align: 8
    .kernarg_segment_size: 76
    .language:       OpenCL C
    .language_version:
      - 2
      - 0
    .max_flat_workgroup_size: 256
    .name:           _ZL33flash_attn_stream_k_fixup_uniformILi256ELi8ELi1EEvPfPK15HIP_vector_typeIfLj2EEiiiiiiS1_IjLj3EES5_S5_
    .private_segment_fixed_size: 0
    .sgpr_count:     26
    .sgpr_spill_count: 0
    .symbol:         _ZL33flash_attn_stream_k_fixup_uniformILi256ELi8ELi1EEvPfPK15HIP_vector_typeIfLj2EEiiiiiiS1_IjLj3EES5_S5_.kd
    .uniform_work_group_size: 1
    .uses_dynamic_stack: false
    .vgpr_count:     15
    .vgpr_spill_count: 0
    .wavefront_size: 32
    .workgroup_processor_mode: 1
  - .args:
      - .address_space:  global
        .offset:         0
        .size:           8
        .value_kind:     global_buffer
      - .address_space:  global
        .offset:         8
        .size:           8
        .value_kind:     global_buffer
      - .offset:         16
        .size:           4
        .value_kind:     by_value
      - .offset:         20
        .size:           4
        .value_kind:     by_value
      - .offset:         24
        .size:           4
        .value_kind:     by_value
      - .offset:         28
        .size:           4
        .value_kind:     by_value
      - .offset:         32
        .size:           12
        .value_kind:     by_value
      - .offset:         44
        .size:           12
        .value_kind:     by_value
      - .offset:         56
        .size:           12
        .value_kind:     by_value
      - .offset:         68
        .size:           12
        .value_kind:     by_value
      - .offset:         80
        .size:           4
        .value_kind:     hidden_block_count_x
      - .offset:         84
        .size:           4
        .value_kind:     hidden_block_count_y
      - .offset:         88
        .size:           4
        .value_kind:     hidden_block_count_z
      - .offset:         92
        .size:           2
        .value_kind:     hidden_group_size_x
      - .offset:         94
        .size:           2
        .value_kind:     hidden_group_size_y
      - .offset:         96
        .size:           2
        .value_kind:     hidden_group_size_z
      - .offset:         98
        .size:           2
        .value_kind:     hidden_remainder_x
      - .offset:         100
        .size:           2
        .value_kind:     hidden_remainder_y
      - .offset:         102
        .size:           2
        .value_kind:     hidden_remainder_z
      - .offset:         120
        .size:           8
        .value_kind:     hidden_global_offset_x
      - .offset:         128
        .size:           8
        .value_kind:     hidden_global_offset_y
      - .offset:         136
        .size:           8
        .value_kind:     hidden_global_offset_z
      - .offset:         144
        .size:           2
        .value_kind:     hidden_grid_dims
    .group_segment_fixed_size: 0
    .kernarg_segment_align: 8
    .kernarg_segment_size: 336
    .language:       OpenCL C
    .language_version:
      - 2
      - 0
    .max_flat_workgroup_size: 256
    .name:           _ZL33flash_attn_stream_k_fixup_generalILi256ELi8ELi1EEvPfPK15HIP_vector_typeIfLj2EEiiiiS1_IjLj3EES5_S5_S5_
    .private_segment_fixed_size: 0
    .sgpr_count:     33
    .sgpr_spill_count: 0
    .symbol:         _ZL33flash_attn_stream_k_fixup_generalILi256ELi8ELi1EEvPfPK15HIP_vector_typeIfLj2EEiiiiS1_IjLj3EES5_S5_S5_.kd
    .uniform_work_group_size: 1
    .uses_dynamic_stack: false
    .vgpr_count:     17
    .vgpr_spill_count: 0
    .wavefront_size: 32
    .workgroup_processor_mode: 1
  - .args:
      - .address_space:  global
        .offset:         0
        .size:           8
        .value_kind:     global_buffer
      - .address_space:  global
        .offset:         8
        .size:           8
        .value_kind:     global_buffer
      - .address_space:  global
        .offset:         16
        .size:           8
        .value_kind:     global_buffer
      - .offset:         24
        .size:           4
        .value_kind:     by_value
      - .offset:         32
        .size:           4
        .value_kind:     hidden_block_count_x
      - .offset:         36
        .size:           4
        .value_kind:     hidden_block_count_y
      - .offset:         40
        .size:           4
        .value_kind:     hidden_block_count_z
      - .offset:         44
        .size:           2
        .value_kind:     hidden_group_size_x
      - .offset:         46
        .size:           2
        .value_kind:     hidden_group_size_y
      - .offset:         48
        .size:           2
        .value_kind:     hidden_group_size_z
      - .offset:         50
        .size:           2
        .value_kind:     hidden_remainder_x
      - .offset:         52
        .size:           2
        .value_kind:     hidden_remainder_y
      - .offset:         54
        .size:           2
        .value_kind:     hidden_remainder_z
      - .offset:         72
        .size:           8
        .value_kind:     hidden_global_offset_x
      - .offset:         80
        .size:           8
        .value_kind:     hidden_global_offset_y
      - .offset:         88
        .size:           8
        .value_kind:     hidden_global_offset_z
      - .offset:         96
        .size:           2
        .value_kind:     hidden_grid_dims
      - .offset:         152
        .size:           4
        .value_kind:     hidden_dynamic_lds_size
    .group_segment_fixed_size: 0
    .kernarg_segment_align: 8
    .kernarg_segment_size: 288
    .language:       OpenCL C
    .language_version:
      - 2
      - 0
    .max_flat_workgroup_size: 256
    .name:           _ZL26flash_attn_combine_resultsILi256EEvPKfPK15HIP_vector_typeIfLj2EEPfi
    .private_segment_fixed_size: 0
    .sgpr_count:     20
    .sgpr_spill_count: 0
    .symbol:         _ZL26flash_attn_combine_resultsILi256EEvPKfPK15HIP_vector_typeIfLj2EEPfi.kd
    .uniform_work_group_size: 1
    .uses_dynamic_stack: false
    .vgpr_count:     52
    .vgpr_spill_count: 0
    .wavefront_size: 32
    .workgroup_processor_mode: 1
amdhsa.target:   amdgcn-amd-amdhsa--gfx1030
amdhsa.version:
  - 1
  - 2
...

	.end_amdgpu_metadata
